;; amdgpu-corpus repo=ROCm/rocFFT kind=compiled arch=gfx950 opt=O3
	.text
	.amdgcn_target "amdgcn-amd-amdhsa--gfx950"
	.amdhsa_code_object_version 6
	.protected	bluestein_single_fwd_len816_dim1_sp_op_CI_CI ; -- Begin function bluestein_single_fwd_len816_dim1_sp_op_CI_CI
	.globl	bluestein_single_fwd_len816_dim1_sp_op_CI_CI
	.p2align	8
	.type	bluestein_single_fwd_len816_dim1_sp_op_CI_CI,@function
bluestein_single_fwd_len816_dim1_sp_op_CI_CI: ; @bluestein_single_fwd_len816_dim1_sp_op_CI_CI
; %bb.0:
	s_load_dwordx4 s[8:11], s[0:1], 0x28
	v_mul_u32_u24_e32 v1, 0x506, v0
	v_mov_b32_e32 v243, 0
	v_add_u32_sdwa v188, s2, v1 dst_sel:DWORD dst_unused:UNUSED_PAD src0_sel:DWORD src1_sel:WORD_1
	v_mov_b32_e32 v189, v243
	s_waitcnt lgkmcnt(0)
	v_cmp_gt_u64_e32 vcc, s[8:9], v[188:189]
	s_and_saveexec_b64 s[2:3], vcc
	s_cbranch_execz .LBB0_23
; %bb.1:
	s_load_dwordx2 s[8:9], s[0:1], 0x0
	s_load_dwordx2 s[12:13], s[0:1], 0x38
	v_mov_b32_e32 v2, 51
	v_mul_lo_u16_sdwa v1, v1, v2 dst_sel:DWORD dst_unused:UNUSED_PAD src0_sel:WORD_1 src1_sel:DWORD
	v_sub_u16_e32 v242, v0, v1
	v_cmp_gt_u16_e32 vcc, 48, v242
	v_lshlrev_b32_e32 v58, 3, v242
	s_and_saveexec_b64 s[14:15], vcc
	s_cbranch_execz .LBB0_3
; %bb.2:
	s_load_dwordx2 s[2:3], s[0:1], 0x18
	v_mov_b32_e32 v0, s10
	v_mov_b32_e32 v1, s11
	v_or_b32_e32 v71, 0x300, v242
	v_or_b32_e32 v37, 0xc0, v242
	s_waitcnt lgkmcnt(0)
	s_load_dwordx4 s[4:7], s[2:3], 0x0
	v_or_b32_e32 v39, 0x180, v242
	v_lshlrev_b32_e32 v32, 3, v71
	v_mov_b32_e32 v56, 0x180
	v_mov_b32_e32 v57, 0x300
	s_waitcnt lgkmcnt(0)
	v_mad_u64_u32 v[2:3], s[2:3], s6, v188, 0
	v_mad_u64_u32 v[4:5], s[2:3], s4, v242, 0
	v_mov_b32_e32 v6, v3
	v_mov_b32_e32 v8, v5
	v_mad_u64_u32 v[6:7], s[2:3], s7, v188, v[6:7]
	v_mov_b32_e32 v3, v6
	v_mad_u64_u32 v[6:7], s[2:3], s5, v242, v[8:9]
	v_mov_b32_e32 v5, v6
	v_lshl_add_u64 v[0:1], v[2:3], 3, v[0:1]
	v_lshl_add_u64 v[14:15], v[4:5], 3, v[0:1]
	global_load_dwordx2 v[2:3], v58, s[8:9] offset:384
	global_load_dwordx2 v[4:5], v58, s[8:9] offset:768
	;; [unrolled: 1-line block ×10, first 2 shown]
	global_load_dwordx2 v[28:29], v58, s[8:9]
	global_load_dwordx2 v[30:31], v32, s[8:9]
	v_mad_u64_u32 v[32:33], s[2:3], s4, v37, 0
	v_mad_u64_u32 v[34:35], s[2:3], s4, v39, 0
	v_mov_b32_e32 v36, v33
	v_mov_b32_e32 v38, v35
	v_mad_u64_u32 v[20:21], s[2:3], s4, v56, v[14:15]
	s_mul_i32 s6, s5, 0x180
	v_mad_u64_u32 v[36:37], s[2:3], s5, v37, v[36:37]
	v_mad_u64_u32 v[38:39], s[2:3], s5, v39, v[38:39]
	v_add_u32_e32 v21, s6, v21
	v_mov_b32_e32 v33, v36
	v_mov_b32_e32 v35, v38
	v_lshl_add_u64 v[32:33], v[32:33], 3, v[0:1]
	v_lshl_add_u64 v[34:35], v[34:35], 3, v[0:1]
	global_load_dwordx2 v[36:37], v[14:15], off
	global_load_dwordx2 v[38:39], v[32:33], off
	global_load_dwordx2 v[40:41], v[34:35], off
	global_load_dwordx2 v[42:43], v[20:21], off
	v_mad_u64_u32 v[14:15], s[2:3], s4, v56, v[20:21]
	v_add_u32_e32 v15, s6, v15
	v_mad_u64_u32 v[20:21], s[2:3], s4, v56, v[14:15]
	v_add_u32_e32 v21, s6, v21
	s_mul_i32 s7, s5, 0x300
	v_mad_u64_u32 v[32:33], s[2:3], s4, v57, v[20:21]
	v_add_u32_e32 v33, s7, v33
	global_load_dwordx2 v[14:15], v[14:15], off
	v_mov_b32_e32 v59, 0
	global_load_dwordx2 v[20:21], v[20:21], off
	v_lshl_add_u64 v[26:27], s[8:9], 0, v[58:59]
	global_load_dwordx2 v[34:35], v[32:33], off
	v_mad_u64_u32 v[32:33], s[2:3], s4, v56, v[32:33]
	v_add_u32_e32 v33, s6, v33
	global_load_dwordx2 v[44:45], v[32:33], off
	v_mad_u64_u32 v[32:33], s[2:3], s4, v56, v[32:33]
	v_add_u32_e32 v33, s6, v33
	global_load_dwordx2 v[46:47], v[32:33], off
	v_mad_u64_u32 v[32:33], s[2:3], s4, v57, v[32:33]
	v_add_u32_e32 v33, s7, v33
	global_load_dwordx2 v[48:49], v[32:33], off
	v_mad_u64_u32 v[32:33], s[2:3], s4, v56, v[32:33]
	v_add_u32_e32 v33, s6, v33
	global_load_dwordx2 v[50:51], v[32:33], off
	v_mad_u64_u32 v[32:33], s[2:3], s4, v56, v[32:33]
	s_movk_i32 s2, 0x1000
	s_nop 0
	v_add_co_u32_e64 v26, s[2:3], s2, v26
	v_or_b32_e32 v59, 0x240, v242
	s_nop 0
	v_addc_co_u32_e64 v27, s[2:3], 0, v27, s[2:3]
	v_mad_u64_u32 v[54:55], s[2:3], s4, v59, 0
	v_mov_b32_e32 v60, v55
	v_add_u32_e32 v33, s6, v33
	v_mad_u64_u32 v[60:61], s[2:3], s5, v59, v[60:61]
	global_load_dwordx2 v[52:53], v[32:33], off
	v_mov_b32_e32 v55, v60
	v_mad_u64_u32 v[32:33], s[2:3], s4, v57, v[32:33]
	v_lshl_add_u64 v[54:55], v[54:55], 3, v[0:1]
	v_add_u32_e32 v33, s7, v33
	global_load_dwordx2 v[60:61], v[54:55], off
	global_load_dwordx2 v[62:63], v[26:27], off offset:128
	global_load_dwordx2 v[64:65], v[32:33], off
	v_mad_u64_u32 v[32:33], s[2:3], s4, v56, v[32:33]
	v_lshlrev_b32_e32 v54, 3, v59
	v_add_u32_e32 v33, s6, v33
	global_load_dwordx2 v[54:55], v54, s[8:9]
	v_mad_u64_u32 v[68:69], s[2:3], s4, v71, 0
	global_load_dwordx2 v[66:67], v[26:27], off offset:896
	global_load_dwordx2 v[72:73], v[32:33], off
	global_load_dwordx2 v[74:75], v[26:27], off offset:1280
	v_mad_u64_u32 v[32:33], s[2:3], s4, v56, v[32:33]
	v_mov_b32_e32 v70, v69
	v_add_u32_e32 v33, s6, v33
	global_load_dwordx2 v[76:77], v[32:33], off
	global_load_dwordx2 v[78:79], v[26:27], off offset:1664
	v_mad_u64_u32 v[26:27], s[2:3], s5, v71, v[70:71]
	v_mov_b32_e32 v69, v26
	v_lshl_add_u64 v[0:1], v[68:69], 3, v[0:1]
	global_load_dwordx2 v[0:1], v[0:1], off
	s_waitcnt vmcnt(21)
	v_mul_f32_e32 v26, v37, v29
	v_mul_f32_e32 v27, v36, v29
	v_fmac_f32_e32 v26, v36, v28
	v_fma_f32 v27, v37, v28, -v27
	s_waitcnt vmcnt(18)
	v_mul_f32_e32 v28, v43, v3
	v_mul_f32_e32 v3, v42, v3
	v_fmac_f32_e32 v28, v42, v2
	v_fma_f32 v29, v43, v2, -v3
	ds_write2_b64 v58, v[26:27], v[28:29] offset1:48
	s_waitcnt vmcnt(17)
	v_mul_f32_e32 v2, v14, v5
	v_fma_f32 v3, v15, v4, -v2
	v_mul_f32_e32 v2, v15, v5
	v_fmac_f32_e32 v2, v14, v4
	s_waitcnt vmcnt(16)
	v_mul_f32_e32 v4, v21, v11
	v_mul_f32_e32 v5, v20, v11
	v_fmac_f32_e32 v4, v20, v10
	v_fma_f32 v5, v21, v10, -v5
	ds_write2_b64 v58, v[2:3], v[4:5] offset0:96 offset1:144
	v_mul_f32_e32 v2, v39, v7
	v_mul_f32_e32 v3, v38, v7
	s_waitcnt vmcnt(15)
	v_mul_f32_e32 v4, v35, v9
	v_mul_f32_e32 v5, v34, v9
	v_fmac_f32_e32 v2, v38, v6
	v_fma_f32 v3, v39, v6, -v3
	v_fmac_f32_e32 v4, v34, v8
	v_fma_f32 v5, v35, v8, -v5
	ds_write2_b64 v58, v[2:3], v[4:5] offset0:192 offset1:240
	s_waitcnt vmcnt(14)
	v_mul_f32_e32 v2, v45, v13
	v_mul_f32_e32 v3, v44, v13
	s_waitcnt vmcnt(13)
	v_mul_f32_e32 v4, v47, v17
	v_mul_f32_e32 v5, v46, v17
	v_fmac_f32_e32 v2, v44, v12
	v_fma_f32 v3, v45, v12, -v3
	v_fmac_f32_e32 v4, v46, v16
	v_fma_f32 v5, v47, v16, -v5
	v_add_u32_e32 v6, 0x800, v58
	ds_write2_b64 v6, v[2:3], v[4:5] offset0:32 offset1:80
	v_mul_f32_e32 v2, v41, v19
	v_mul_f32_e32 v3, v40, v19
	s_waitcnt vmcnt(12)
	v_mul_f32_e32 v4, v49, v23
	v_mul_f32_e32 v5, v48, v23
	v_fmac_f32_e32 v2, v40, v18
	v_fma_f32 v3, v41, v18, -v3
	v_fmac_f32_e32 v4, v48, v22
	v_fma_f32 v5, v49, v22, -v5
	ds_write2_b64 v6, v[2:3], v[4:5] offset0:128 offset1:176
	s_waitcnt vmcnt(11)
	v_mul_f32_e32 v2, v51, v25
	v_mul_f32_e32 v3, v50, v25
	v_fmac_f32_e32 v2, v50, v24
	v_fma_f32 v3, v51, v24, -v3
	s_waitcnt vmcnt(8)
	v_mul_f32_e32 v4, v53, v63
	v_mul_f32_e32 v5, v52, v63
	v_fmac_f32_e32 v4, v52, v62
	v_fma_f32 v5, v53, v62, -v5
	v_add_u32_e32 v6, 0xc00, v58
	ds_write2_b64 v6, v[2:3], v[4:5] offset0:96 offset1:144
	s_waitcnt vmcnt(6)
	v_mul_f32_e32 v2, v61, v55
	v_mul_f32_e32 v3, v60, v55
	v_fmac_f32_e32 v2, v60, v54
	s_waitcnt vmcnt(5)
	v_mul_f32_e32 v4, v65, v67
	v_mul_f32_e32 v5, v64, v67
	v_fma_f32 v3, v61, v54, -v3
	v_fmac_f32_e32 v4, v64, v66
	v_fma_f32 v5, v65, v66, -v5
	v_add_u32_e32 v6, 0x1000, v58
	ds_write2_b64 v6, v[2:3], v[4:5] offset0:64 offset1:112
	s_waitcnt vmcnt(3)
	v_mul_f32_e32 v2, v73, v75
	v_mul_f32_e32 v3, v72, v75
	s_waitcnt vmcnt(1)
	v_mul_f32_e32 v4, v77, v79
	v_mul_f32_e32 v5, v76, v79
	v_fmac_f32_e32 v2, v72, v74
	v_fma_f32 v3, v73, v74, -v3
	v_fmac_f32_e32 v4, v76, v78
	v_fma_f32 v5, v77, v78, -v5
	ds_write2_b64 v6, v[2:3], v[4:5] offset0:160 offset1:208
	s_waitcnt vmcnt(0)
	v_mul_f32_e32 v2, v1, v31
	v_fmac_f32_e32 v2, v0, v30
	v_mul_f32_e32 v0, v0, v31
	v_fma_f32 v3, v1, v30, -v0
	ds_write_b64 v58, v[2:3] offset:6144
.LBB0_3:
	s_or_b64 exec, exec, s[14:15]
	s_load_dwordx2 s[2:3], s[0:1], 0x20
	s_load_dwordx2 s[10:11], s[0:1], 0x8
	v_mov_b64_e32 v[0:1], 0
	s_waitcnt lgkmcnt(0)
	; wave barrier
	s_waitcnt lgkmcnt(0)
                                        ; implicit-def: $vgpr6
                                        ; implicit-def: $vgpr12
                                        ; implicit-def: $vgpr10
                                        ; implicit-def: $vgpr20
                                        ; implicit-def: $vgpr18
                                        ; implicit-def: $vgpr28
                                        ; implicit-def: $vgpr26
                                        ; implicit-def: $vgpr32
	s_and_saveexec_b64 s[0:1], vcc
	s_cbranch_execz .LBB0_5
; %bb.4:
	v_add_u32_e32 v4, 0x800, v58
	v_add_u32_e32 v12, 0xc00, v58
	;; [unrolled: 1-line block ×3, first 2 shown]
	ds_read2_b64 v[0:3], v58 offset1:48
	ds_read2_b64 v[24:27], v58 offset0:96 offset1:144
	ds_read2_b64 v[16:19], v58 offset0:192 offset1:240
	;; [unrolled: 1-line block ×7, first 2 shown]
	ds_read_b64 v[32:33], v58 offset:6144
.LBB0_5:
	s_or_b64 exec, exec, s[0:1]
	s_waitcnt lgkmcnt(0)
	v_pk_add_f32 v[48:49], v[2:3], v[32:33] neg_lo:[0,1] neg_hi:[0,1]
	s_mov_b32 s26, 0xbeb8f4ab
	v_pk_add_f32 v[46:47], v[32:33], v[2:3]
	v_pk_add_f32 v[44:45], v[24:25], v[30:31] neg_lo:[0,1] neg_hi:[0,1]
	s_mov_b32 s16, 0x3f6eb680
	v_pk_mul_f32 v[50:51], v[48:49], s[26:27] op_sel_hi:[1,0]
	s_mov_b32 s40, 0xbf2c7751
	v_pk_add_f32 v[42:43], v[30:31], v[24:25]
	v_pk_fma_f32 v[60:61], v[46:47], s[16:17], v[50:51] op_sel:[0,0,1] op_sel_hi:[1,0,0]
	v_pk_fma_f32 v[70:71], v[46:47], s[16:17], v[50:51] op_sel:[0,0,1] op_sel_hi:[1,0,0] neg_lo:[0,0,1] neg_hi:[0,0,1]
	s_mov_b32 s14, 0x3f3d2fb0
	v_pk_mul_f32 v[52:53], v[44:45], s[40:41] op_sel_hi:[1,0]
	v_mov_b32_e32 v50, v60
	v_mov_b32_e32 v51, v71
	v_pk_fma_f32 v[72:73], v[42:43], s[14:15], v[52:53] op_sel:[0,0,1] op_sel_hi:[1,0,0]
	v_pk_fma_f32 v[76:77], v[42:43], s[14:15], v[52:53] op_sel:[0,0,1] op_sel_hi:[1,0,0] neg_lo:[0,0,1] neg_hi:[0,0,1]
	v_pk_add_f32 v[40:41], v[26:27], v[28:29] neg_lo:[0,1] neg_hi:[0,1]
	v_pk_add_f32 v[50:51], v[50:51], v[0:1]
	v_mov_b32_e32 v52, v72
	v_mov_b32_e32 v53, v77
	s_mov_b32 s44, 0xbf65296c
	v_pk_add_f32 v[38:39], v[28:29], v[26:27]
	v_pk_add_f32 v[50:51], v[52:53], v[50:51]
	s_mov_b32 s6, 0x3ee437d1
	v_pk_mul_f32 v[52:53], v[40:41], s[44:45] op_sel_hi:[1,0]
	v_pk_add_f32 v[36:37], v[16:17], v[22:23] neg_lo:[0,1] neg_hi:[0,1]
	v_pk_fma_f32 v[78:79], v[38:39], s[6:7], v[52:53] op_sel:[0,0,1] op_sel_hi:[1,0,0]
	v_pk_fma_f32 v[80:81], v[38:39], s[6:7], v[52:53] op_sel:[0,0,1] op_sel_hi:[1,0,0] neg_lo:[0,0,1] neg_hi:[0,0,1]
	v_mov_b32_e32 v52, v78
	v_mov_b32_e32 v53, v81
	s_mov_b32 s36, 0xbf7ee86f
	v_pk_add_f32 v[34:35], v[22:23], v[16:17]
	v_pk_add_f32 v[50:51], v[52:53], v[50:51]
	s_mov_b32 s4, 0x3dbcf732
	v_pk_mul_f32 v[52:53], v[36:37], s[36:37] op_sel_hi:[1,0]
	s_mov_b32 s20, 0xbf763a35
	v_pk_fma_f32 v[82:83], v[34:35], s[4:5], v[52:53] op_sel:[0,0,1] op_sel_hi:[1,0,0]
	v_pk_fma_f32 v[86:87], v[34:35], s[4:5], v[52:53] op_sel:[0,0,1] op_sel_hi:[1,0,0] neg_lo:[0,0,1] neg_hi:[0,0,1]
	v_mov_b32_e32 v52, v82
	v_mov_b32_e32 v53, v87
	v_pk_add_f32 v[54:55], v[18:19], v[20:21] neg_lo:[0,1] neg_hi:[0,1]
	v_pk_add_f32 v[52:53], v[52:53], v[50:51]
	s_mov_b32 s18, 0xbe8c1d8e
	v_pk_add_f32 v[50:51], v[20:21], v[18:19]
	v_pk_mul_f32 v[62:63], v[54:55], s[20:21] op_sel_hi:[1,0]
	s_mov_b32 s24, 0xbf4c4adb
	v_pk_fma_f32 v[88:89], v[50:51], s[18:19], v[62:63] op_sel:[0,0,1] op_sel_hi:[1,0,0]
	v_pk_fma_f32 v[90:91], v[50:51], s[18:19], v[62:63] op_sel:[0,0,1] op_sel_hi:[1,0,0] neg_lo:[0,0,1] neg_hi:[0,0,1]
	v_mov_b32_e32 v62, v88
	v_mov_b32_e32 v63, v91
	v_pk_add_f32 v[64:65], v[8:9], v[14:15] neg_lo:[0,1] neg_hi:[0,1]
	v_pk_add_f32 v[52:53], v[62:63], v[52:53]
	s_mov_b32 s22, 0xbf1a4643
	v_pk_add_f32 v[62:63], v[14:15], v[8:9]
	;; [unrolled: 10-line block ×4, first 2 shown]
	v_pk_mul_f32 v[102:103], v[84:85], s[38:39] op_sel_hi:[1,0]
	v_mul_lo_u16_e32 v202, 17, v242
	v_pk_fma_f32 v[100:101], v[74:75], s[34:35], v[102:103] op_sel:[0,0,1] op_sel_hi:[1,0,0]
	v_pk_fma_f32 v[102:103], v[74:75], s[34:35], v[102:103] op_sel:[0,0,1] op_sel_hi:[1,0,0] neg_lo:[0,0,1] neg_hi:[0,0,1]
	v_mov_b32_e32 v104, v100
	v_mov_b32_e32 v105, v103
	v_pk_add_f32 v[52:53], v[104:105], v[52:53]
	s_waitcnt lgkmcnt(0)
	; wave barrier
	s_and_saveexec_b64 s[0:1], vcc
	s_cbranch_execz .LBB0_7
; %bb.6:
	v_pk_add_f32 v[2:3], v[2:3], v[0:1]
	v_mov_b32_e32 v71, v61
	v_pk_add_f32 v[2:3], v[24:25], v[2:3]
	v_mov_b32_e32 v77, v73
	;; [unrolled: 2-line block ×7, first 2 shown]
	v_pk_add_f32 v[2:3], v[4:5], v[2:3]
	v_pk_add_f32 v[4:5], v[70:71], v[0:1]
	;; [unrolled: 1-line block ×15, first 2 shown]
	v_mov_b32_e32 v103, v101
	v_lshlrev_b32_e32 v59, 3, v202
	v_pk_add_f32 v[2:3], v[32:33], v[2:3]
	v_pk_add_f32 v[4:5], v[102:103], v[4:5]
	ds_write2_b64 v59, v[2:3], v[4:5] offset1:1
	v_pk_mul_f32 v[4:5], v[48:49], s[40:41] op_sel_hi:[1,0]
	v_pk_mul_f32 v[8:9], v[44:45], s[36:37] op_sel_hi:[1,0]
	v_pk_fma_f32 v[2:3], v[46:47], s[14:15], v[4:5] op_sel:[0,0,1] op_sel_hi:[1,0,0] neg_lo:[0,0,1] neg_hi:[0,0,1]
	v_pk_fma_f32 v[4:5], v[46:47], s[14:15], v[4:5] op_sel:[0,0,1] op_sel_hi:[1,0,0]
	v_mov_b32_e32 v6, v2
	v_mov_b32_e32 v7, v5
	v_pk_add_f32 v[10:11], v[6:7], v[0:1]
	v_pk_fma_f32 v[6:7], v[42:43], s[4:5], v[8:9] op_sel:[0,0,1] op_sel_hi:[1,0,0] neg_lo:[0,0,1] neg_hi:[0,0,1]
	v_pk_fma_f32 v[8:9], v[42:43], s[4:5], v[8:9] op_sel:[0,0,1] op_sel_hi:[1,0,0]
	v_mov_b32_e32 v12, v6
	v_mov_b32_e32 v13, v9
	v_pk_add_f32 v[14:15], v[12:13], v[10:11]
	v_pk_mul_f32 v[12:13], v[40:41], s[24:25] op_sel_hi:[1,0]
	s_mov_b32 s52, 0x3f06c442
	v_pk_fma_f32 v[10:11], v[38:39], s[22:23], v[12:13] op_sel:[0,0,1] op_sel_hi:[1,0,0] neg_lo:[0,0,1] neg_hi:[0,0,1]
	v_pk_fma_f32 v[12:13], v[38:39], s[22:23], v[12:13] op_sel:[0,0,1] op_sel_hi:[1,0,0]
	v_mov_b32_e32 v16, v10
	v_mov_b32_e32 v17, v13
	v_pk_add_f32 v[18:19], v[16:17], v[14:15]
	v_pk_mul_f32 v[16:17], v[36:37], s[38:39] op_sel_hi:[1,0]
	s_mov_b32 s50, 0x3f763a35
	;; [unrolled: 7-line block ×4, first 2 shown]
	v_pk_fma_f32 v[22:23], v[62:63], s[18:19], v[24:25] op_sel:[0,0,1] op_sel_hi:[1,0,0] neg_lo:[0,0,1] neg_hi:[0,0,1]
	v_pk_fma_f32 v[24:25], v[62:63], s[18:19], v[24:25] op_sel:[0,0,1] op_sel_hi:[1,0,0]
	v_mov_b32_e32 v28, v22
	v_mov_b32_e32 v29, v25
	v_pk_add_f32 v[30:31], v[28:29], v[26:27]
	v_pk_mul_f32 v[28:29], v[68:69], s[42:43] op_sel_hi:[1,0]
	v_pk_mul_f32 v[72:73], v[48:49], s[44:45] op_sel_hi:[1,0]
	v_pk_fma_f32 v[26:27], v[66:67], s[6:7], v[28:29] op_sel:[0,0,1] op_sel_hi:[1,0,0] neg_lo:[0,0,1] neg_hi:[0,0,1]
	v_pk_fma_f32 v[28:29], v[66:67], s[6:7], v[28:29] op_sel:[0,0,1] op_sel_hi:[1,0,0]
	v_mov_b32_e32 v32, v26
	v_mov_b32_e32 v33, v29
	v_pk_add_f32 v[60:61], v[32:33], v[30:31]
	v_pk_mul_f32 v[32:33], v[84:85], s[46:47] op_sel_hi:[1,0]
	v_pk_mul_f32 v[78:79], v[44:45], s[24:25] op_sel_hi:[1,0]
	v_pk_fma_f32 v[30:31], v[74:75], s[16:17], v[32:33] op_sel:[0,0,1] op_sel_hi:[1,0,0] neg_lo:[0,0,1] neg_hi:[0,0,1]
	v_pk_fma_f32 v[32:33], v[74:75], s[16:17], v[32:33] op_sel:[0,0,1] op_sel_hi:[1,0,0]
	v_mov_b32_e32 v70, v30
	v_mov_b32_e32 v71, v33
	v_pk_add_f32 v[60:61], v[70:71], v[60:61]
	v_pk_fma_f32 v[70:71], v[46:47], s[6:7], v[72:73] op_sel:[0,0,1] op_sel_hi:[1,0,0] neg_lo:[0,0,1] neg_hi:[0,0,1]
	v_pk_fma_f32 v[72:73], v[46:47], s[6:7], v[72:73] op_sel:[0,0,1] op_sel_hi:[1,0,0]
	v_mov_b32_e32 v76, v70
	v_mov_b32_e32 v77, v73
	s_mov_b32 s48, 0x3e3c28d5
	v_pk_add_f32 v[80:81], v[76:77], v[0:1]
	v_pk_fma_f32 v[76:77], v[42:43], s[22:23], v[78:79] op_sel:[0,0,1] op_sel_hi:[1,0,0] neg_lo:[0,0,1] neg_hi:[0,0,1]
	v_pk_fma_f32 v[78:79], v[42:43], s[22:23], v[78:79] op_sel:[0,0,1] op_sel_hi:[1,0,0]
	v_pk_mul_f32 v[82:83], v[40:41], s[48:49] op_sel_hi:[1,0]
	v_mov_b32_e32 v86, v76
	v_mov_b32_e32 v87, v79
	v_pk_add_f32 v[86:87], v[86:87], v[80:81]
	v_pk_fma_f32 v[80:81], v[38:39], s[34:35], v[82:83] op_sel:[0,0,1] op_sel_hi:[1,0,0] neg_lo:[0,0,1] neg_hi:[0,0,1]
	v_pk_fma_f32 v[82:83], v[38:39], s[34:35], v[82:83] op_sel:[0,0,1] op_sel_hi:[1,0,0]
	v_pk_mul_f32 v[88:89], v[36:37], s[50:51] op_sel_hi:[1,0]
	v_mov_b32_e32 v90, v80
	v_mov_b32_e32 v91, v83
	v_pk_add_f32 v[90:91], v[90:91], v[86:87]
	v_pk_fma_f32 v[86:87], v[34:35], s[18:19], v[88:89] op_sel:[0,0,1] op_sel_hi:[1,0,0] neg_lo:[0,0,1] neg_hi:[0,0,1]
	v_pk_fma_f32 v[88:89], v[34:35], s[18:19], v[88:89] op_sel:[0,0,1] op_sel_hi:[1,0,0]
	v_mov_b32_e32 v92, v86
	v_mov_b32_e32 v93, v89
	s_mov_b32 s48, 0x3f2c7751
	v_pk_add_f32 v[94:95], v[92:93], v[90:91]
	v_pk_mul_f32 v[92:93], v[54:55], s[48:49] op_sel_hi:[1,0]
	v_pk_mul_f32 v[110:111], v[44:45], s[38:39] op_sel_hi:[1,0]
	v_pk_fma_f32 v[90:91], v[50:51], s[14:15], v[92:93] op_sel:[0,0,1] op_sel_hi:[1,0,0] neg_lo:[0,0,1] neg_hi:[0,0,1]
	v_pk_fma_f32 v[92:93], v[50:51], s[14:15], v[92:93] op_sel:[0,0,1] op_sel_hi:[1,0,0]
	v_mov_b32_e32 v96, v90
	v_mov_b32_e32 v97, v93
	v_pk_add_f32 v[98:99], v[96:97], v[94:95]
	v_pk_mul_f32 v[96:97], v[64:65], s[26:27] op_sel_hi:[1,0]
	v_pk_fma_f32 v[112:113], v[42:43], s[34:35], v[110:111] op_sel:[0,0,1] op_sel_hi:[1,0,0] neg_lo:[0,0,1] neg_hi:[0,0,1]
	v_pk_fma_f32 v[94:95], v[62:63], s[16:17], v[96:97] op_sel:[0,0,1] op_sel_hi:[1,0,0] neg_lo:[0,0,1] neg_hi:[0,0,1]
	v_pk_fma_f32 v[96:97], v[62:63], s[16:17], v[96:97] op_sel:[0,0,1] op_sel_hi:[1,0,0]
	v_mov_b32_e32 v100, v94
	v_mov_b32_e32 v101, v97
	v_pk_add_f32 v[102:103], v[100:101], v[98:99]
	v_pk_mul_f32 v[100:101], v[68:69], s[36:37] op_sel_hi:[1,0]
	v_pk_fma_f32 v[110:111], v[42:43], s[34:35], v[110:111] op_sel:[0,0,1] op_sel_hi:[1,0,0]
	v_pk_fma_f32 v[98:99], v[66:67], s[4:5], v[100:101] op_sel:[0,0,1] op_sel_hi:[1,0,0] neg_lo:[0,0,1] neg_hi:[0,0,1]
	v_pk_fma_f32 v[100:101], v[66:67], s[4:5], v[100:101] op_sel:[0,0,1] op_sel_hi:[1,0,0]
	v_mov_b32_e32 v104, v98
	v_mov_b32_e32 v105, v101
	v_pk_add_f32 v[106:107], v[104:105], v[102:103]
	v_pk_mul_f32 v[104:105], v[84:85], s[30:31] op_sel_hi:[1,0]
	v_mov_b32_e32 v114, v112
	v_pk_fma_f32 v[102:103], v[74:75], s[28:29], v[104:105] op_sel:[0,0,1] op_sel_hi:[1,0,0] neg_lo:[0,0,1] neg_hi:[0,0,1]
	v_pk_fma_f32 v[104:105], v[74:75], s[28:29], v[104:105] op_sel:[0,0,1] op_sel_hi:[1,0,0]
	v_mov_b32_e32 v108, v102
	v_mov_b32_e32 v109, v105
	v_pk_add_f32 v[106:107], v[108:109], v[106:107]
	ds_write2_b64 v59, v[60:61], v[106:107] offset0:2 offset1:3
	v_pk_mul_f32 v[60:61], v[48:49], s[36:37] op_sel_hi:[1,0]
	v_mov_b32_e32 v115, v111
	v_pk_fma_f32 v[108:109], v[46:47], s[4:5], v[60:61] op_sel:[0,0,1] op_sel_hi:[1,0,0] neg_lo:[0,0,1] neg_hi:[0,0,1]
	v_pk_fma_f32 v[106:107], v[46:47], s[4:5], v[60:61] op_sel:[0,0,1] op_sel_hi:[1,0,0]
	v_mov_b32_e32 v60, v108
	v_mov_b32_e32 v61, v107
	v_pk_add_f32 v[60:61], v[60:61], v[0:1]
	v_pk_mul_f32 v[116:117], v[40:41], s[50:51] op_sel_hi:[1,0]
	v_pk_add_f32 v[60:61], v[114:115], v[60:61]
	v_pk_fma_f32 v[114:115], v[38:39], s[18:19], v[116:117] op_sel:[0,0,1] op_sel_hi:[1,0,0] neg_lo:[0,0,1] neg_hi:[0,0,1]
	v_pk_fma_f32 v[116:117], v[38:39], s[18:19], v[116:117] op_sel:[0,0,1] op_sel_hi:[1,0,0]
	v_mov_b32_e32 v118, v114
	v_mov_b32_e32 v119, v117
	v_pk_mul_f32 v[120:121], v[36:37], s[46:47] op_sel_hi:[1,0]
	v_pk_add_f32 v[60:61], v[118:119], v[60:61]
	v_pk_fma_f32 v[118:119], v[34:35], s[16:17], v[120:121] op_sel:[0,0,1] op_sel_hi:[1,0,0] neg_lo:[0,0,1] neg_hi:[0,0,1]
	v_pk_fma_f32 v[120:121], v[34:35], s[16:17], v[120:121] op_sel:[0,0,1] op_sel_hi:[1,0,0]
	v_mov_b32_e32 v122, v118
	v_mov_b32_e32 v123, v121
	;; [unrolled: 6-line block ×3, first 2 shown]
	v_pk_mul_f32 v[128:129], v[64:65], s[30:31] op_sel_hi:[1,0]
	v_pk_add_f32 v[60:61], v[126:127], v[60:61]
	v_pk_fma_f32 v[126:127], v[62:63], s[28:29], v[128:129] op_sel:[0,0,1] op_sel_hi:[1,0,0] neg_lo:[0,0,1] neg_hi:[0,0,1]
	v_pk_fma_f32 v[128:129], v[62:63], s[28:29], v[128:129] op_sel:[0,0,1] op_sel_hi:[1,0,0]
	s_mov_b32 s54, 0x3f4c4adb
	v_mov_b32_e32 v130, v126
	v_mov_b32_e32 v131, v129
	v_pk_mul_f32 v[132:133], v[68:69], s[54:55] op_sel_hi:[1,0]
	v_pk_add_f32 v[60:61], v[130:131], v[60:61]
	v_pk_fma_f32 v[130:131], v[66:67], s[22:23], v[132:133] op_sel:[0,0,1] op_sel_hi:[1,0,0] neg_lo:[0,0,1] neg_hi:[0,0,1]
	v_pk_fma_f32 v[132:133], v[66:67], s[22:23], v[132:133] op_sel:[0,0,1] op_sel_hi:[1,0,0]
	v_mov_b32_e32 v134, v130
	v_mov_b32_e32 v135, v133
	v_pk_mul_f32 v[136:137], v[84:85], s[48:49] op_sel_hi:[1,0]
	v_pk_add_f32 v[60:61], v[134:135], v[60:61]
	v_pk_fma_f32 v[134:135], v[74:75], s[14:15], v[136:137] op_sel:[0,0,1] op_sel_hi:[1,0,0] neg_lo:[0,0,1] neg_hi:[0,0,1]
	v_pk_fma_f32 v[136:137], v[74:75], s[14:15], v[136:137] op_sel:[0,0,1] op_sel_hi:[1,0,0]
	v_mov_b32_e32 v138, v134
	v_mov_b32_e32 v139, v137
	v_pk_add_f32 v[168:169], v[138:139], v[60:61]
	v_pk_mul_f32 v[138:139], v[48:49], s[20:21] op_sel_hi:[1,0]
	v_pk_mul_f32 v[174:175], v[44:45], s[50:51] op_sel_hi:[1,0]
	v_pk_fma_f32 v[60:61], v[46:47], s[18:19], v[138:139] op_sel:[0,0,1] op_sel_hi:[1,0,0] neg_lo:[0,0,1] neg_hi:[0,0,1]
	v_pk_fma_f32 v[138:139], v[46:47], s[18:19], v[138:139] op_sel:[0,0,1] op_sel_hi:[1,0,0]
	v_mov_b32_e32 v140, v60
	v_mov_b32_e32 v141, v139
	v_pk_add_f32 v[144:145], v[140:141], v[0:1]
	v_pk_mul_f32 v[140:141], v[44:45], s[52:53] op_sel_hi:[1,0]
	v_pk_fma_f32 v[176:177], v[42:43], s[18:19], v[174:175] op_sel:[0,0,1] op_sel_hi:[1,0,0] neg_lo:[0,0,1] neg_hi:[0,0,1]
	v_pk_fma_f32 v[142:143], v[42:43], s[28:29], v[140:141] op_sel:[0,0,1] op_sel_hi:[1,0,0] neg_lo:[0,0,1] neg_hi:[0,0,1]
	v_pk_fma_f32 v[140:141], v[42:43], s[28:29], v[140:141] op_sel:[0,0,1] op_sel_hi:[1,0,0]
	v_mov_b32_e32 v146, v142
	v_mov_b32_e32 v147, v141
	v_pk_add_f32 v[148:149], v[146:147], v[144:145]
	v_pk_mul_f32 v[146:147], v[40:41], s[48:49] op_sel_hi:[1,0]
	v_pk_fma_f32 v[174:175], v[42:43], s[18:19], v[174:175] op_sel:[0,0,1] op_sel_hi:[1,0,0]
	v_pk_fma_f32 v[144:145], v[38:39], s[14:15], v[146:147] op_sel:[0,0,1] op_sel_hi:[1,0,0] neg_lo:[0,0,1] neg_hi:[0,0,1]
	v_pk_fma_f32 v[146:147], v[38:39], s[14:15], v[146:147] op_sel:[0,0,1] op_sel_hi:[1,0,0]
	v_mov_b32_e32 v150, v144
	v_mov_b32_e32 v151, v147
	v_pk_add_f32 v[152:153], v[150:151], v[148:149]
	v_pk_mul_f32 v[150:151], v[36:37], s[44:45] op_sel_hi:[1,0]
	s_mov_b32 s44, 0x3f7ee86f
	v_pk_fma_f32 v[148:149], v[34:35], s[6:7], v[150:151] op_sel:[0,0,1] op_sel_hi:[1,0,0] neg_lo:[0,0,1] neg_hi:[0,0,1]
	v_pk_fma_f32 v[150:151], v[34:35], s[6:7], v[150:151] op_sel:[0,0,1] op_sel_hi:[1,0,0]
	v_mov_b32_e32 v154, v148
	v_mov_b32_e32 v155, v151
	v_pk_add_f32 v[156:157], v[154:155], v[152:153]
	v_pk_mul_f32 v[154:155], v[54:55], s[38:39] op_sel_hi:[1,0]
	v_mov_b32_e32 v178, v176
	v_pk_fma_f32 v[152:153], v[50:51], s[34:35], v[154:155] op_sel:[0,0,1] op_sel_hi:[1,0,0] neg_lo:[0,0,1] neg_hi:[0,0,1]
	v_pk_fma_f32 v[154:155], v[50:51], s[34:35], v[154:155] op_sel:[0,0,1] op_sel_hi:[1,0,0]
	v_mov_b32_e32 v158, v152
	v_mov_b32_e32 v159, v155
	v_pk_add_f32 v[160:161], v[158:159], v[156:157]
	v_pk_mul_f32 v[158:159], v[64:65], s[44:45] op_sel_hi:[1,0]
	v_mov_b32_e32 v179, v175
	v_pk_fma_f32 v[156:157], v[62:63], s[4:5], v[158:159] op_sel:[0,0,1] op_sel_hi:[1,0,0] neg_lo:[0,0,1] neg_hi:[0,0,1]
	v_pk_fma_f32 v[158:159], v[62:63], s[4:5], v[158:159] op_sel:[0,0,1] op_sel_hi:[1,0,0]
	v_mov_b32_e32 v162, v156
	v_mov_b32_e32 v163, v159
	v_pk_add_f32 v[164:165], v[162:163], v[160:161]
	v_pk_mul_f32 v[162:163], v[68:69], s[26:27] op_sel_hi:[1,0]
	v_pk_mul_f32 v[212:213], v[44:45], s[42:43] op_sel_hi:[1,0]
	v_pk_fma_f32 v[160:161], v[66:67], s[16:17], v[162:163] op_sel:[0,0,1] op_sel_hi:[1,0,0] neg_lo:[0,0,1] neg_hi:[0,0,1]
	v_pk_fma_f32 v[162:163], v[66:67], s[16:17], v[162:163] op_sel:[0,0,1] op_sel_hi:[1,0,0]
	v_mov_b32_e32 v166, v160
	v_mov_b32_e32 v167, v163
	v_pk_add_f32 v[170:171], v[166:167], v[164:165]
	v_pk_mul_f32 v[166:167], v[84:85], s[24:25] op_sel_hi:[1,0]
	v_pk_fma_f32 v[214:215], v[42:43], s[6:7], v[212:213] op_sel:[0,0,1] op_sel_hi:[1,0,0] neg_lo:[0,0,1] neg_hi:[0,0,1]
	v_pk_fma_f32 v[164:165], v[74:75], s[22:23], v[166:167] op_sel:[0,0,1] op_sel_hi:[1,0,0] neg_lo:[0,0,1] neg_hi:[0,0,1]
	v_pk_fma_f32 v[166:167], v[74:75], s[22:23], v[166:167] op_sel:[0,0,1] op_sel_hi:[1,0,0]
	v_mov_b32_e32 v172, v164
	v_mov_b32_e32 v173, v167
	v_pk_add_f32 v[170:171], v[172:173], v[170:171]
	ds_write2_b64 v59, v[168:169], v[170:171] offset0:4 offset1:5
	v_pk_mul_f32 v[168:169], v[48:49], s[24:25] op_sel_hi:[1,0]
	v_pk_fma_f32 v[212:213], v[42:43], s[6:7], v[212:213] op_sel:[0,0,1] op_sel_hi:[1,0,0]
	v_pk_fma_f32 v[170:171], v[46:47], s[22:23], v[168:169] op_sel:[0,0,1] op_sel_hi:[1,0,0] neg_lo:[0,0,1] neg_hi:[0,0,1]
	v_pk_fma_f32 v[168:169], v[46:47], s[22:23], v[168:169] op_sel:[0,0,1] op_sel_hi:[1,0,0]
	v_mov_b32_e32 v172, v170
	v_mov_b32_e32 v173, v169
	v_pk_add_f32 v[172:173], v[172:173], v[0:1]
	v_mov_b32_e32 v216, v214
	v_pk_add_f32 v[172:173], v[178:179], v[172:173]
	v_pk_mul_f32 v[178:179], v[40:41], s[26:27] op_sel_hi:[1,0]
	v_mov_b32_e32 v217, v213
	v_pk_fma_f32 v[180:181], v[38:39], s[16:17], v[178:179] op_sel:[0,0,1] op_sel_hi:[1,0,0] neg_lo:[0,0,1] neg_hi:[0,0,1]
	v_pk_fma_f32 v[178:179], v[38:39], s[16:17], v[178:179] op_sel:[0,0,1] op_sel_hi:[1,0,0]
	v_mov_b32_e32 v182, v180
	v_mov_b32_e32 v183, v179
	v_pk_add_f32 v[172:173], v[182:183], v[172:173]
	v_pk_mul_f32 v[182:183], v[36:37], s[30:31] op_sel_hi:[1,0]
	v_pk_mul_f32 v[44:45], v[44:45], s[46:47] op_sel_hi:[1,0]
	v_pk_fma_f32 v[184:185], v[34:35], s[28:29], v[182:183] op_sel:[0,0,1] op_sel_hi:[1,0,0] neg_lo:[0,0,1] neg_hi:[0,0,1]
	v_pk_fma_f32 v[182:183], v[34:35], s[28:29], v[182:183] op_sel:[0,0,1] op_sel_hi:[1,0,0]
	v_mov_b32_e32 v186, v184
	v_mov_b32_e32 v187, v183
	v_pk_add_f32 v[172:173], v[186:187], v[172:173]
	v_pk_mul_f32 v[186:187], v[54:55], s[44:45] op_sel_hi:[1,0]
	v_mov_b32_e32 v169, v171
	v_pk_fma_f32 v[190:191], v[50:51], s[4:5], v[186:187] op_sel:[0,0,1] op_sel_hi:[1,0,0] neg_lo:[0,0,1] neg_hi:[0,0,1]
	v_pk_fma_f32 v[186:187], v[50:51], s[4:5], v[186:187] op_sel:[0,0,1] op_sel_hi:[1,0,0]
	v_mov_b32_e32 v192, v190
	v_mov_b32_e32 v193, v187
	v_pk_add_f32 v[172:173], v[192:193], v[172:173]
	v_pk_mul_f32 v[192:193], v[64:65], s[40:41] op_sel_hi:[1,0]
	v_mov_b32_e32 v213, v215
	;; [unrolled: 7-line block ×4, first 2 shown]
	v_pk_fma_f32 v[204:205], v[74:75], s[6:7], v[200:201] op_sel:[0,0,1] op_sel_hi:[1,0,0] neg_lo:[0,0,1] neg_hi:[0,0,1]
	v_pk_fma_f32 v[200:201], v[74:75], s[6:7], v[200:201] op_sel:[0,0,1] op_sel_hi:[1,0,0]
	v_mov_b32_e32 v206, v204
	v_mov_b32_e32 v207, v201
	v_pk_add_f32 v[172:173], v[206:207], v[172:173]
	v_pk_mul_f32 v[206:207], v[48:49], s[30:31] op_sel_hi:[1,0]
	v_pk_mul_f32 v[48:49], v[48:49], s[38:39] op_sel_hi:[1,0]
	v_pk_fma_f32 v[208:209], v[46:47], s[28:29], v[206:207] op_sel:[0,0,1] op_sel_hi:[1,0,0] neg_lo:[0,0,1] neg_hi:[0,0,1]
	v_pk_fma_f32 v[206:207], v[46:47], s[28:29], v[206:207] op_sel:[0,0,1] op_sel_hi:[1,0,0]
	v_mov_b32_e32 v210, v208
	v_mov_b32_e32 v211, v207
	v_pk_add_f32 v[210:211], v[210:211], v[0:1]
	v_mov_b32_e32 v207, v209
	v_pk_add_f32 v[210:211], v[216:217], v[210:211]
	v_pk_mul_f32 v[216:217], v[40:41], s[36:37] op_sel_hi:[1,0]
	v_pk_mul_f32 v[40:41], v[40:41], s[30:31] op_sel_hi:[1,0]
	v_pk_fma_f32 v[218:219], v[38:39], s[4:5], v[216:217] op_sel:[0,0,1] op_sel_hi:[1,0,0] neg_lo:[0,0,1] neg_hi:[0,0,1]
	v_pk_fma_f32 v[216:217], v[38:39], s[4:5], v[216:217] op_sel:[0,0,1] op_sel_hi:[1,0,0]
	v_mov_b32_e32 v220, v218
	v_mov_b32_e32 v221, v217
	v_pk_add_f32 v[210:211], v[220:221], v[210:211]
	v_pk_mul_f32 v[220:221], v[36:37], s[54:55] op_sel_hi:[1,0]
	v_pk_mul_f32 v[36:37], v[36:37], s[48:49] op_sel_hi:[1,0]
	v_pk_fma_f32 v[222:223], v[34:35], s[22:23], v[220:221] op_sel:[0,0,1] op_sel_hi:[1,0,0] neg_lo:[0,0,1] neg_hi:[0,0,1]
	v_pk_fma_f32 v[220:221], v[34:35], s[22:23], v[220:221] op_sel:[0,0,1] op_sel_hi:[1,0,0]
	v_mov_b32_e32 v224, v222
	v_mov_b32_e32 v225, v221
	v_pk_add_f32 v[210:211], v[224:225], v[210:211]
	v_pk_mul_f32 v[224:225], v[54:55], s[26:27] op_sel_hi:[1,0]
	v_mov_b32_e32 v217, v219
	v_pk_fma_f32 v[226:227], v[50:51], s[16:17], v[224:225] op_sel:[0,0,1] op_sel_hi:[1,0,0] neg_lo:[0,0,1] neg_hi:[0,0,1]
	v_pk_fma_f32 v[224:225], v[50:51], s[16:17], v[224:225] op_sel:[0,0,1] op_sel_hi:[1,0,0]
	v_mov_b32_e32 v228, v226
	v_mov_b32_e32 v229, v225
	v_pk_add_f32 v[210:211], v[228:229], v[210:211]
	v_pk_mul_f32 v[228:229], v[64:65], s[38:39] op_sel_hi:[1,0]
	v_mov_b32_e32 v221, v223
	;; [unrolled: 7-line block ×4, first 2 shown]
	v_pk_fma_f32 v[238:239], v[74:75], s[18:19], v[236:237] op_sel:[0,0,1] op_sel_hi:[1,0,0] neg_lo:[0,0,1] neg_hi:[0,0,1]
	v_pk_fma_f32 v[236:237], v[74:75], s[18:19], v[236:237] op_sel:[0,0,1] op_sel_hi:[1,0,0]
	v_mov_b32_e32 v240, v238
	v_mov_b32_e32 v241, v237
	v_pk_add_f32 v[210:211], v[240:241], v[210:211]
	ds_write2_b64 v59, v[172:173], v[210:211] offset0:6 offset1:7
	v_pk_fma_f32 v[172:173], v[46:47], s[34:35], v[48:49] op_sel:[0,0,1] op_sel_hi:[1,0,0] neg_lo:[0,0,1] neg_hi:[0,0,1]
	v_pk_fma_f32 v[46:47], v[46:47], s[34:35], v[48:49] op_sel:[0,0,1] op_sel_hi:[1,0,0]
	v_pk_fma_f32 v[48:49], v[42:43], s[16:17], v[44:45] op_sel:[0,0,1] op_sel_hi:[1,0,0] neg_lo:[0,0,1] neg_hi:[0,0,1]
	v_pk_fma_f32 v[42:43], v[42:43], s[16:17], v[44:45] op_sel:[0,0,1] op_sel_hi:[1,0,0]
	v_mov_b32_e32 v44, v172
	v_mov_b32_e32 v45, v47
	v_pk_add_f32 v[44:45], v[44:45], v[0:1]
	v_mov_b32_e32 v210, v48
	v_mov_b32_e32 v211, v43
	v_pk_add_f32 v[44:45], v[210:211], v[44:45]
	v_pk_fma_f32 v[210:211], v[38:39], s[28:29], v[40:41] op_sel:[0,0,1] op_sel_hi:[1,0,0] neg_lo:[0,0,1] neg_hi:[0,0,1]
	v_pk_fma_f32 v[38:39], v[38:39], s[28:29], v[40:41] op_sel:[0,0,1] op_sel_hi:[1,0,0]
	v_mov_b32_e32 v40, v210
	v_mov_b32_e32 v41, v39
	v_pk_add_f32 v[40:41], v[40:41], v[44:45]
	v_pk_fma_f32 v[44:45], v[34:35], s[14:15], v[36:37] op_sel:[0,0,1] op_sel_hi:[1,0,0] neg_lo:[0,0,1] neg_hi:[0,0,1]
	v_pk_fma_f32 v[34:35], v[34:35], s[14:15], v[36:37] op_sel:[0,0,1] op_sel_hi:[1,0,0]
	v_mov_b32_e32 v36, v44
	v_mov_b32_e32 v37, v35
	v_pk_add_f32 v[36:37], v[36:37], v[40:41]
	v_pk_mul_f32 v[40:41], v[54:55], s[24:25] op_sel_hi:[1,0]
	v_mov_b32_e32 v47, v173
	v_pk_fma_f32 v[54:55], v[50:51], s[22:23], v[40:41] op_sel:[0,0,1] op_sel_hi:[1,0,0] neg_lo:[0,0,1] neg_hi:[0,0,1]
	v_pk_fma_f32 v[40:41], v[50:51], s[22:23], v[40:41] op_sel:[0,0,1] op_sel_hi:[1,0,0]
	v_mov_b32_e32 v50, v54
	v_mov_b32_e32 v51, v41
	v_pk_add_f32 v[36:37], v[50:51], v[36:37]
	v_pk_mul_f32 v[50:51], v[64:65], s[42:43] op_sel_hi:[1,0]
	v_mov_b32_e32 v43, v49
	v_pk_fma_f32 v[64:65], v[62:63], s[6:7], v[50:51] op_sel:[0,0,1] op_sel_hi:[1,0,0] neg_lo:[0,0,1] neg_hi:[0,0,1]
	v_pk_fma_f32 v[50:51], v[62:63], s[6:7], v[50:51] op_sel:[0,0,1] op_sel_hi:[1,0,0]
	v_mov_b32_e32 v62, v64
	v_mov_b32_e32 v63, v51
	v_pk_add_f32 v[46:47], v[46:47], v[0:1]
	v_pk_add_f32 v[36:37], v[62:63], v[36:37]
	v_pk_mul_f32 v[62:63], v[68:69], s[20:21] op_sel_hi:[1,0]
	v_pk_add_f32 v[42:43], v[42:43], v[46:47]
	v_mov_b32_e32 v39, v211
	v_pk_fma_f32 v[68:69], v[66:67], s[18:19], v[62:63] op_sel:[0,0,1] op_sel_hi:[1,0,0] neg_lo:[0,0,1] neg_hi:[0,0,1]
	v_pk_fma_f32 v[62:63], v[66:67], s[18:19], v[62:63] op_sel:[0,0,1] op_sel_hi:[1,0,0]
	v_pk_add_f32 v[38:39], v[38:39], v[42:43]
	v_mov_b32_e32 v35, v45
	v_mov_b32_e32 v66, v68
	;; [unrolled: 1-line block ×3, first 2 shown]
	v_pk_add_f32 v[34:35], v[34:35], v[38:39]
	v_mov_b32_e32 v41, v55
	v_pk_add_f32 v[36:37], v[66:67], v[36:37]
	v_pk_mul_f32 v[66:67], v[84:85], s[44:45] op_sel_hi:[1,0]
	v_pk_add_f32 v[34:35], v[40:41], v[34:35]
	v_mov_b32_e32 v51, v65
	v_pk_fma_f32 v[84:85], v[74:75], s[4:5], v[66:67] op_sel:[0,0,1] op_sel_hi:[1,0,0] neg_lo:[0,0,1] neg_hi:[0,0,1]
	v_pk_fma_f32 v[66:67], v[74:75], s[4:5], v[66:67] op_sel:[0,0,1] op_sel_hi:[1,0,0]
	v_pk_add_f32 v[34:35], v[50:51], v[34:35]
	v_mov_b32_e32 v63, v69
	v_mov_b32_e32 v74, v84
	;; [unrolled: 1-line block ×3, first 2 shown]
	v_pk_add_f32 v[34:35], v[62:63], v[34:35]
	v_mov_b32_e32 v67, v85
	v_pk_add_f32 v[36:37], v[74:75], v[36:37]
	v_pk_add_f32 v[34:35], v[66:67], v[34:35]
	ds_write2_b64 v59, v[36:37], v[34:35] offset0:8 offset1:9
	v_pk_add_f32 v[34:35], v[206:207], v[0:1]
	v_pk_add_f32 v[36:37], v[168:169], v[0:1]
	;; [unrolled: 1-line block ×8, first 2 shown]
	v_mov_b32_e32 v187, v191
	v_pk_add_f32 v[34:35], v[224:225], v[34:35]
	v_mov_b32_e32 v229, v231
	v_pk_add_f32 v[36:37], v[186:187], v[36:37]
	;; [unrolled: 2-line block ×7, first 2 shown]
	v_pk_add_f32 v[36:37], v[200:201], v[36:37]
	v_mov_b32_e32 v139, v61
	v_mov_b32_e32 v107, v109
	ds_write2_b64 v59, v[34:35], v[36:37] offset0:10 offset1:11
	v_mov_b32_e32 v141, v143
	v_pk_add_f32 v[34:35], v[138:139], v[0:1]
	v_mov_b32_e32 v111, v113
	v_pk_add_f32 v[36:37], v[106:107], v[0:1]
	v_pk_add_f32 v[34:35], v[140:141], v[34:35]
	v_mov_b32_e32 v147, v145
	v_pk_add_f32 v[36:37], v[110:111], v[36:37]
	v_mov_b32_e32 v117, v115
	;; [unrolled: 2-line block ×12, first 2 shown]
	v_pk_add_f32 v[34:35], v[166:167], v[34:35]
	v_pk_add_f32 v[36:37], v[136:137], v[36:37]
	v_mov_b32_e32 v73, v71
	v_mov_b32_e32 v5, v3
	ds_write2_b64 v59, v[34:35], v[36:37] offset0:12 offset1:13
	v_pk_add_f32 v[34:35], v[72:73], v[0:1]
	v_mov_b32_e32 v79, v77
	v_pk_add_f32 v[0:1], v[4:5], v[0:1]
	v_mov_b32_e32 v9, v7
	;; [unrolled: 2-line block ×14, first 2 shown]
	v_pk_add_f32 v[34:35], v[104:105], v[34:35]
	v_pk_add_f32 v[0:1], v[32:33], v[0:1]
	ds_write2_b64 v59, v[34:35], v[0:1] offset0:14 offset1:15
	ds_write_b64 v59, v[52:53] offset:128
.LBB0_7:
	s_or_b64 exec, exec, s[0:1]
	v_add_u16_e32 v84, 0x132, v242
	v_mul_u32_u24_e32 v0, 0xf0f1, v84
	v_add_u16_e32 v85, 0x165, v242
	v_lshrrev_b32_e32 v6, 20, v0
	v_mul_u32_u24_e32 v1, 0xf0f1, v85
	v_mul_lo_u16_e32 v0, 17, v6
	v_lshrrev_b32_e32 v9, 20, v1
	v_sub_u16_e32 v7, v84, v0
	v_mul_lo_u16_e32 v1, 17, v9
	v_add_u16_e32 v59, 0xff, v242
	v_lshlrev_b32_e32 v0, 3, v7
	v_sub_u16_e32 v13, v85, v1
	s_load_dwordx4 s[4:7], s[2:3], 0x0
	s_waitcnt lgkmcnt(0)
	; wave barrier
	s_waitcnt lgkmcnt(0)
	v_lshlrev_b32_e32 v1, 3, v13
	global_load_dwordx2 v[208:209], v0, s[10:11]
	global_load_dwordx2 v[210:211], v1, s[10:11]
	v_mul_u32_u24_e32 v0, 0xf0f1, v59
	v_lshrrev_b32_e32 v10, 20, v0
	v_mul_lo_u16_e32 v1, 17, v10
	s_movk_i32 s0, 0xf1
	v_add_u16_e32 v92, 0xcc, v242
	v_sub_u16_e32 v11, v59, v1
	v_mul_lo_u16_sdwa v12, v92, s0 dst_sel:DWORD dst_unused:UNUSED_PAD src0_sel:BYTE_0 src1_sel:DWORD
	v_lshlrev_b32_e32 v1, 3, v11
	v_lshrrev_b16_e32 v14, 12, v12
	global_load_dwordx2 v[76:77], v1, s[10:11]
	v_mul_lo_u16_e32 v1, 17, v14
	v_sub_u16_e32 v1, v92, v1
	v_add_u16_e32 v20, 0x99, v242
	v_and_b32_e32 v15, 0xff, v1
	v_mul_lo_u16_sdwa v21, v20, s0 dst_sel:DWORD dst_unused:UNUSED_PAD src0_sel:BYTE_0 src1_sel:DWORD
	v_lshlrev_b32_e32 v1, 3, v15
	v_lshrrev_b16_e32 v19, 12, v21
	global_load_dwordx2 v[206:207], v1, s[10:11]
	v_mul_lo_u16_e32 v1, 17, v19
	v_add_u16_e32 v16, 0x66, v242
	v_sub_u16_e32 v1, v20, v1
	v_mul_lo_u16_sdwa v17, v16, s0 dst_sel:DWORD dst_unused:UNUSED_PAD src0_sel:BYTE_0 src1_sel:DWORD
	v_and_b32_e32 v26, 0xff, v1
	v_lshrrev_b16_e32 v18, 12, v17
	v_lshlrev_b32_e32 v1, 3, v26
	global_load_dwordx2 v[74:75], v1, s[10:11]
	v_mul_lo_u16_e32 v1, 17, v18
	v_sub_u16_e32 v1, v16, v1
	v_and_b32_e32 v27, 0xff, v1
	v_lshlrev_b32_e32 v1, 3, v27
	v_add_u16_e32 v8, 51, v242
	global_load_dwordx2 v[72:73], v1, s[10:11]
	v_mul_lo_u16_sdwa v1, v8, s0 dst_sel:DWORD dst_unused:UNUSED_PAD src0_sel:BYTE_0 src1_sel:DWORD
	v_lshrrev_b16_e32 v28, 12, v1
	v_mul_lo_u16_e32 v2, 17, v28
	v_sub_u16_e32 v2, v8, v2
	v_and_b32_e32 v29, 0xff, v2
	v_lshlrev_b32_e32 v2, 3, v29
	global_load_dwordx2 v[70:71], v2, s[10:11]
	v_mul_lo_u16_sdwa v2, v242, s0 dst_sel:DWORD dst_unused:UNUSED_PAD src0_sel:BYTE_0 src1_sel:DWORD
	v_lshrrev_b16_e32 v31, 12, v2
	v_mul_lo_u16_e32 v2, 17, v31
	v_mov_b32_e32 v30, 3
	v_sub_u16_e32 v32, v242, v2
	v_lshlrev_b32_sdwa v2, v30, v32 dst_sel:DWORD dst_unused:UNUSED_PAD src0_sel:DWORD src1_sel:BYTE_0
	global_load_dwordx2 v[68:69], v2, s[10:11]
	v_lshlrev_b32_sdwa v189, v30, v242 dst_sel:DWORD dst_unused:UNUSED_PAD src0_sel:DWORD src1_sel:WORD_0
	v_add_u32_e32 v54, 0x800, v189
	v_add_u32_e32 v55, 0x1000, v189
	ds_read2_b64 v[2:5], v54 offset0:50 offset1:101
	ds_read2_b64 v[22:25], v55 offset0:202 offset1:253
	v_mad_legacy_u16 v6, v6, 34, v7
	v_mul_u32_u24_e32 v18, 34, v18
	v_mul_u32_u24_e32 v19, 34, v19
	;; [unrolled: 1-line block ×3, first 2 shown]
	v_lshlrev_b32_e32 v203, 3, v6
	v_add_lshl_u32 v215, v18, v27, 3
	v_add_lshl_u32 v216, v19, v26, 3
	;; [unrolled: 1-line block ×3, first 2 shown]
	v_mul_lo_u16_e32 v28, 34, v28
	v_and_b32_e32 v28, 0xfe, v28
	v_mad_legacy_u16 v31, v31, 34, v32
	v_mad_legacy_u16 v10, v10, 34, v11
	v_lshlrev_b32_sdwa v213, v30, v31 dst_sel:DWORD dst_unused:UNUSED_PAD src0_sel:DWORD src1_sel:BYTE_0
	v_add_lshl_u32 v214, v28, v29, 3
	ds_read2_b64 v[28:31], v189 offset0:204 offset1:255
	v_lshlrev_b32_e32 v212, 3, v10
	v_cmp_gt_u16_e64 s[0:1], 17, v242
                                        ; implicit-def: $vgpr60
                                        ; implicit-def: $vgpr78
	s_waitcnt vmcnt(7) lgkmcnt(1)
	v_pk_mul_f32 v[10:11], v[22:23], v[208:209] op_sel:[0,1]
	s_waitcnt vmcnt(6)
	v_pk_mul_f32 v[6:7], v[24:25], v[210:211] op_sel:[0,1]
	v_pk_fma_f32 v[18:19], v[22:23], v[208:209], v[10:11] op_sel:[0,0,1] op_sel_hi:[1,1,0] neg_lo:[0,0,1] neg_hi:[0,0,1]
	v_pk_fma_f32 v[14:15], v[24:25], v[210:211], v[6:7] op_sel:[0,0,1] op_sel_hi:[1,0,0]
	v_pk_fma_f32 v[6:7], v[24:25], v[210:211], v[6:7] op_sel:[0,0,1] op_sel_hi:[1,0,0] neg_lo:[0,0,1] neg_hi:[0,0,1]
	ds_read2_b64 v[24:27], v55 offset0:100 offset1:151
	v_mov_b32_e32 v7, v15
	v_pk_add_f32 v[80:81], v[4:5], v[6:7] neg_lo:[0,1] neg_hi:[0,1]
	v_pk_fma_f32 v[6:7], v[22:23], v[208:209], v[10:11] op_sel:[0,0,1] op_sel_hi:[1,0,0]
	s_waitcnt vmcnt(5) lgkmcnt(0)
	v_pk_mul_f32 v[10:11], v[26:27], v[76:77] op_sel:[0,1]
	s_nop 0
	v_pk_fma_f32 v[14:15], v[26:27], v[76:77], v[10:11] op_sel:[0,0,1] op_sel_hi:[1,1,0] neg_lo:[0,0,1] neg_hi:[0,0,1]
	v_pk_fma_f32 v[10:11], v[26:27], v[76:77], v[10:11] op_sel:[0,0,1] op_sel_hi:[1,0,0]
	v_mov_b32_e32 v19, v7
	v_mov_b32_e32 v15, v11
	v_pk_add_f32 v[10:11], v[30:31], v[14:15] neg_lo:[0,1] neg_hi:[0,1]
	v_pk_add_f32 v[6:7], v[2:3], v[18:19] neg_lo:[0,1] neg_hi:[0,1]
	s_waitcnt vmcnt(4)
	v_pk_mul_f32 v[14:15], v[24:25], v[206:207] op_sel:[0,1]
	s_nop 0
	v_pk_fma_f32 v[18:19], v[24:25], v[206:207], v[14:15] op_sel:[0,0,1] op_sel_hi:[1,1,0] neg_lo:[0,0,1] neg_hi:[0,0,1]
	v_pk_fma_f32 v[14:15], v[24:25], v[206:207], v[14:15] op_sel:[0,0,1] op_sel_hi:[1,0,0]
	v_pk_fma_f32 v[2:3], v[2:3], 2.0, v[6:7] op_sel_hi:[1,0,1] neg_lo:[0,0,1] neg_hi:[0,0,1]
	v_add_u32_e32 v14, 0xc00, v189
	ds_read2_b64 v[22:25], v14 offset0:126 offset1:177
	v_mov_b32_e32 v19, v15
	v_pk_add_f32 v[14:15], v[28:29], v[18:19] neg_lo:[0,1] neg_hi:[0,1]
	s_waitcnt vmcnt(3) lgkmcnt(0)
	v_pk_mul_f32 v[32:33], v[24:25], v[74:75] op_sel:[0,1]
	v_pk_fma_f32 v[18:19], v[28:29], 2.0, v[14:15] op_sel_hi:[1,0,1] neg_lo:[0,0,1] neg_hi:[0,0,1]
	ds_read2_b64 v[26:29], v189 offset0:102 offset1:153
	v_pk_fma_f32 v[34:35], v[24:25], v[74:75], v[32:33] op_sel:[0,0,1] op_sel_hi:[1,1,0] neg_lo:[0,0,1] neg_hi:[0,0,1]
	v_pk_fma_f32 v[24:25], v[24:25], v[74:75], v[32:33] op_sel:[0,0,1] op_sel_hi:[1,0,0]
	s_nop 0
	v_mov_b32_e32 v35, v25
	s_waitcnt lgkmcnt(0)
	v_pk_add_f32 v[32:33], v[28:29], v[34:35] neg_lo:[0,1] neg_hi:[0,1]
	s_waitcnt vmcnt(2)
	v_pk_mul_f32 v[24:25], v[22:23], v[72:73] op_sel:[0,1]
	v_pk_fma_f32 v[34:35], v[28:29], 2.0, v[32:33] op_sel_hi:[1,0,1] neg_lo:[0,0,1] neg_hi:[0,0,1]
	v_pk_fma_f32 v[28:29], v[22:23], v[72:73], v[24:25] op_sel:[0,0,1] op_sel_hi:[1,1,0] neg_lo:[0,0,1] neg_hi:[0,0,1]
	v_pk_fma_f32 v[36:37], v[22:23], v[72:73], v[24:25] op_sel:[0,0,1] op_sel_hi:[1,0,0]
	ds_read2_b64 v[22:25], v54 offset0:152 offset1:203
	v_mov_b32_e32 v29, v37
	v_pk_add_f32 v[36:37], v[26:27], v[28:29] neg_lo:[0,1] neg_hi:[0,1]
	s_waitcnt vmcnt(1) lgkmcnt(0)
	v_pk_mul_f32 v[40:41], v[24:25], v[70:71] op_sel:[0,1]
	v_pk_fma_f32 v[38:39], v[26:27], 2.0, v[36:37] op_sel_hi:[1,0,1] neg_lo:[0,0,1] neg_hi:[0,0,1]
	ds_read2_b64 v[26:29], v189 offset1:51
	v_pk_fma_f32 v[42:43], v[24:25], v[70:71], v[40:41] op_sel:[0,0,1] op_sel_hi:[1,1,0] neg_lo:[0,0,1] neg_hi:[0,0,1]
	v_pk_fma_f32 v[24:25], v[24:25], v[70:71], v[40:41] op_sel:[0,0,1] op_sel_hi:[1,0,0]
	s_waitcnt vmcnt(0)
	v_pk_mul_f32 v[40:41], v[22:23], v[68:69] op_sel:[0,1]
	v_mov_b32_e32 v43, v25
	s_waitcnt lgkmcnt(0)
	v_pk_add_f32 v[24:25], v[28:29], v[42:43] neg_lo:[0,1] neg_hi:[0,1]
	v_pk_fma_f32 v[42:43], v[22:23], v[68:69], v[40:41] op_sel:[0,0,1] op_sel_hi:[1,1,0] neg_lo:[0,0,1] neg_hi:[0,0,1]
	v_pk_fma_f32 v[22:23], v[22:23], v[68:69], v[40:41] op_sel:[0,0,1] op_sel_hi:[1,0,0]
	v_pk_fma_f32 v[28:29], v[28:29], 2.0, v[24:25] op_sel_hi:[1,0,1] neg_lo:[0,0,1] neg_hi:[0,0,1]
	v_mov_b32_e32 v43, v23
	v_pk_add_f32 v[22:23], v[26:27], v[42:43] neg_lo:[0,1] neg_hi:[0,1]
	s_nop 0
	v_pk_fma_f32 v[26:27], v[26:27], 2.0, v[22:23] op_sel_hi:[1,0,1] neg_lo:[0,0,1] neg_hi:[0,0,1]
	; wave barrier
	ds_write2_b64 v213, v[26:27], v[22:23] offset1:17
	ds_write2_b64 v214, v[28:29], v[24:25] offset1:17
	;; [unrolled: 1-line block ×5, first 2 shown]
	v_pk_fma_f32 v[14:15], v[30:31], 2.0, v[10:11] op_sel_hi:[1,0,1] neg_lo:[0,0,1] neg_hi:[0,0,1]
	ds_write2_b64 v212, v[14:15], v[10:11] offset1:17
	ds_write2_b64 v203, v[2:3], v[6:7] offset1:17
	v_mad_legacy_u16 v2, v9, 34, v13
	v_lshlrev_b32_e32 v218, 3, v2
	v_pk_fma_f32 v[2:3], v[4:5], 2.0, v[80:81] op_sel_hi:[1,0,1] neg_lo:[0,0,1] neg_hi:[0,0,1]
	ds_write2_b64 v218, v[2:3], v[80:81] offset1:17
	v_add_u32_e32 v2, 0x400, v189
	s_waitcnt lgkmcnt(0)
	; wave barrier
	s_waitcnt lgkmcnt(0)
	ds_read2_b64 v[44:47], v189 offset1:51
	ds_read2_b64 v[24:27], v2 offset0:76 offset1:144
	ds_read2_b64 v[48:51], v55 offset0:32 offset1:83
	;; [unrolled: 1-line block ×6, first 2 shown]
	ds_read_b64 v[82:83], v189 offset:5984
	s_and_saveexec_b64 s[2:3], s[0:1]
	s_cbranch_execz .LBB0_9
; %bb.8:
	ds_read_b64 v[60:61], v189 offset:6392
	ds_read_b64 v[80:81], v189 offset:2040
	ds_read_b64 v[52:53], v189 offset:4216
	s_waitcnt lgkmcnt(2)
	v_mov_b32_e32 v78, v61
.LBB0_9:
	s_or_b64 exec, exec, s[2:3]
	s_movk_i32 s2, 0xffde
	s_mov_b32 s3, -1
	v_lshl_add_u64 v[2:3], v[242:243], 0, s[2:3]
	v_cmp_gt_u16_e64 s[2:3], 34, v242
	v_lshrrev_b32_e32 v0, 21, v0
	v_mul_lo_u16_e32 v0, 34, v0
	v_cndmask_b32_e64 v23, v3, 0, s[2:3]
	v_cndmask_b32_e64 v22, v2, v242, s[2:3]
	v_lshl_add_u64 v[2:3], v[22:23], 4, s[10:11]
	v_lshrrev_b16_e32 v23, 13, v1
	v_sub_u16_e32 v56, v59, v0
	v_mul_lo_u16_e32 v9, 34, v23
	v_lshlrev_b16_e32 v54, 4, v56
	v_mov_b32_e32 v55, 0
	v_sub_u16_e32 v8, v8, v9
	global_load_dwordx4 v[4:7], v[2:3], off offset:136
	v_lshl_add_u64 v[0:1], s[10:11], 0, v[54:55]
	v_and_b32_e32 v57, 0xff, v8
	global_load_dwordx4 v[0:3], v[0:1], off offset:136
	v_lshlrev_b32_e32 v8, 4, v57
	global_load_dwordx4 v[8:11], v8, s[10:11] offset:136
	v_lshrrev_b16_e32 v64, 13, v17
	v_mul_lo_u16_e32 v17, 34, v64
	v_sub_u16_e32 v16, v16, v17
	v_and_b32_e32 v65, 0xff, v16
	v_lshlrev_b32_e32 v16, 4, v65
	global_load_dwordx4 v[16:19], v16, s[10:11] offset:136
	v_lshrrev_b16_e32 v66, 13, v21
	s_waitcnt lgkmcnt(0)
	v_mov_b32_e32 v54, v53
	v_mul_lo_u16_e32 v53, 34, v66
	v_sub_u16_e32 v20, v20, v53
	v_mov_b32_e32 v21, 0x66
	v_cmp_lt_u16_e64 s[2:3], 33, v242
	v_and_b32_e32 v67, 0xff, v20
	v_mul_u32_u24_e32 v23, 0x66, v23
	v_cndmask_b32_e64 v21, 0, v21, s[2:3]
	v_lshlrev_b32_e32 v20, 4, v67
	v_add_lshl_u32 v220, v22, v21, 3
	v_add_lshl_u32 v219, v23, v57, 3
	global_load_dwordx4 v[20:23], v20, s[10:11] offset:136
	v_lshrrev_b16_e32 v62, 13, v12
	v_mul_lo_u16_e32 v12, 34, v62
	v_sub_u16_e32 v12, v92, v12
	v_and_b32_e32 v63, 0xff, v12
	v_lshlrev_b32_e32 v12, 4, v63
	global_load_dwordx4 v[12:15], v12, s[10:11] offset:136
	s_mov_b32 s14, 0x3f5db3d7
	s_waitcnt lgkmcnt(0)
	; wave barrier
	v_lshlrev_b32_e32 v226, 3, v56
	s_waitcnt vmcnt(5)
	v_pk_mul_f32 v[86:87], v[26:27], v[4:5] op_sel:[0,1]
	v_mov_b32_e32 v88, v7
	v_pk_fma_f32 v[94:95], v[26:27], v[4:5], v[86:87] op_sel:[0,0,1] op_sel_hi:[1,1,0] neg_lo:[0,0,1] neg_hi:[0,0,1]
	s_waitcnt vmcnt(4)
	v_pk_mul_f32 v[90:91], v[54:55], v[0:1] op_sel_hi:[0,1]
	v_pk_mul_f32 v[78:79], v[78:79], v[2:3] op_sel_hi:[0,1]
	v_pk_fma_f32 v[86:87], v[26:27], v[4:5], v[86:87] op_sel:[0,0,1] op_sel_hi:[1,0,0]
	v_pk_mul_f32 v[88:89], v[48:49], v[88:89] op_sel_hi:[1,0]
	s_waitcnt vmcnt(3)
	v_pk_mul_f32 v[96:97], v[40:41], v[8:9] op_sel:[0,1]
	v_pk_fma_f32 v[98:99], v[52:53], v[0:1], v[90:91] op_sel:[0,0,1] op_sel_hi:[0,1,0]
	v_pk_fma_f32 v[26:27], v[52:53], v[0:1], v[90:91] op_sel:[0,0,1] op_sel_hi:[0,1,0] neg_lo:[0,0,1] neg_hi:[0,0,1]
	v_pk_fma_f32 v[90:91], v[60:61], v[2:3], v[78:79] op_sel:[0,0,1] op_sel_hi:[0,1,0]
	v_pk_fma_f32 v[52:53], v[60:61], v[2:3], v[78:79] op_sel:[0,0,1] op_sel_hi:[0,1,0] neg_lo:[0,0,1] neg_hi:[0,0,1]
	v_mov_b32_e32 v95, v87
	v_pk_fma_f32 v[60:61], v[48:49], v[6:7], v[88:89] op_sel:[0,0,1] op_sel_hi:[1,1,0] neg_lo:[0,0,1] neg_hi:[0,0,1]
	v_pk_fma_f32 v[48:49], v[48:49], v[6:7], v[88:89] op_sel:[0,0,1] op_sel_hi:[1,0,0]
	v_pk_fma_f32 v[86:87], v[40:41], v[8:9], v[96:97] op_sel:[0,0,1] op_sel_hi:[1,1,0] neg_lo:[0,0,1] neg_hi:[0,0,1]
	v_pk_fma_f32 v[40:41], v[40:41], v[8:9], v[96:97] op_sel:[0,0,1] op_sel_hi:[1,0,0]
	v_mov_b32_e32 v27, v99
	v_mov_b32_e32 v53, v91
	;; [unrolled: 1-line block ×3, first 2 shown]
	v_pk_add_f32 v[48:49], v[44:45], v[94:95]
	v_mov_b32_e32 v87, v41
	v_pk_add_f32 v[40:41], v[26:27], v[52:53]
	v_pk_add_f32 v[78:79], v[26:27], v[52:53] neg_lo:[0,1] neg_hi:[0,1]
	v_pk_add_f32 v[48:49], v[48:49], v[60:61]
	v_pk_add_f32 v[88:89], v[94:95], v[60:61]
	v_pk_add_f32 v[60:61], v[94:95], v[60:61] neg_lo:[0,1] neg_hi:[0,1]
	v_pk_fma_f32 v[40:41], v[40:41], 0.5, v[80:81] op_sel_hi:[1,0,1] neg_lo:[1,0,0] neg_hi:[1,0,0]
	v_pk_mul_f32 v[78:79], v[78:79], s[14:15] op_sel_hi:[1,0]
	v_pk_fma_f32 v[44:45], v[88:89], 0.5, v[44:45] op_sel_hi:[1,0,1] neg_lo:[1,0,0] neg_hi:[1,0,0]
	v_pk_mul_f32 v[60:61], v[60:61], s[14:15] op_sel_hi:[1,0]
	v_mov_b32_e32 v54, v11
	v_pk_add_f32 v[88:89], v[40:41], v[78:79] op_sel:[0,1] op_sel_hi:[1,0]
	v_pk_add_f32 v[78:79], v[40:41], v[78:79] op_sel:[0,1] op_sel_hi:[1,0] neg_lo:[0,1] neg_hi:[0,1]
	v_pk_add_f32 v[40:41], v[44:45], v[60:61] op_sel:[0,1] op_sel_hi:[1,0]
	v_pk_add_f32 v[44:45], v[44:45], v[60:61] op_sel:[0,1] op_sel_hi:[1,0] neg_lo:[0,1] neg_hi:[0,1]
	v_mov_b32_e32 v60, v40
	v_mov_b32_e32 v61, v45
	;; [unrolled: 1-line block ×3, first 2 shown]
	v_pk_mul_f32 v[40:41], v[50:51], v[54:55] op_sel_hi:[1,0]
	ds_write2_b64 v220, v[48:49], v[60:61] offset1:34
	ds_write_b64 v220, v[44:45] offset:544
	v_pk_fma_f32 v[44:45], v[50:51], v[10:11], v[40:41] op_sel:[0,0,1] op_sel_hi:[1,1,0] neg_lo:[0,0,1] neg_hi:[0,0,1]
	v_pk_fma_f32 v[40:41], v[50:51], v[10:11], v[40:41] op_sel:[0,0,1] op_sel_hi:[1,0,0]
	v_mov_b32_e32 v116, v88
	v_mov_b32_e32 v45, v41
	v_pk_add_f32 v[40:41], v[46:47], v[86:87]
	v_pk_add_f32 v[48:49], v[86:87], v[44:45]
	;; [unrolled: 1-line block ×3, first 2 shown]
	v_pk_add_f32 v[44:45], v[86:87], v[44:45] neg_lo:[0,1] neg_hi:[0,1]
	v_pk_fma_f32 v[46:47], v[48:49], 0.5, v[46:47] op_sel_hi:[1,0,1] neg_lo:[1,0,0] neg_hi:[1,0,0]
	v_pk_mul_f32 v[44:45], v[44:45], s[14:15] op_sel_hi:[1,0]
	v_mov_b32_e32 v117, v79
	v_pk_add_f32 v[48:49], v[46:47], v[44:45] op_sel:[0,1] op_sel_hi:[1,0]
	v_pk_add_f32 v[44:45], v[46:47], v[44:45] op_sel:[0,1] op_sel_hi:[1,0] neg_lo:[0,1] neg_hi:[0,1]
	v_mov_b32_e32 v46, v48
	v_mov_b32_e32 v47, v45
	ds_write2_b64 v219, v[40:41], v[46:47] offset1:34
	v_mul_u32_u24_e32 v40, 0x66, v64
	v_mov_b32_e32 v45, v49
	v_add_lshl_u32 v223, v40, v65, 3
	s_waitcnt vmcnt(2)
	v_pk_mul_f32 v[40:41], v[42:43], v[16:17] op_sel:[0,1]
	ds_write_b64 v219, v[44:45] offset:544
	v_pk_fma_f32 v[44:45], v[42:43], v[16:17], v[40:41] op_sel:[0,0,1] op_sel_hi:[1,1,0] neg_lo:[0,0,1] neg_hi:[0,0,1]
	v_pk_fma_f32 v[40:41], v[42:43], v[16:17], v[40:41] op_sel:[0,0,1] op_sel_hi:[1,0,0]
	v_mov_b32_e32 v79, v89
	v_mov_b32_e32 v40, v19
	;; [unrolled: 1-line block ×3, first 2 shown]
	v_pk_mul_f32 v[40:41], v[36:37], v[40:41] op_sel_hi:[1,0]
	s_nop 0
	v_pk_fma_f32 v[42:43], v[36:37], v[18:19], v[40:41] op_sel:[0,0,1] op_sel_hi:[1,1,0] neg_lo:[0,0,1] neg_hi:[0,0,1]
	v_pk_fma_f32 v[36:37], v[36:37], v[18:19], v[40:41] op_sel:[0,0,1] op_sel_hi:[1,0,0]
	s_nop 0
	v_mov_b32_e32 v43, v37
	v_pk_add_f32 v[40:41], v[44:45], v[42:43]
	v_pk_add_f32 v[36:37], v[32:33], v[44:45]
	v_pk_fma_f32 v[32:33], v[40:41], 0.5, v[32:33] op_sel_hi:[1,0,1] neg_lo:[1,0,0] neg_hi:[1,0,0]
	v_pk_add_f32 v[40:41], v[44:45], v[42:43] neg_lo:[0,1] neg_hi:[0,1]
	v_pk_add_f32 v[36:37], v[36:37], v[42:43]
	v_pk_mul_f32 v[40:41], v[40:41], s[14:15] op_sel_hi:[1,0]
	s_nop 0
	v_pk_add_f32 v[42:43], v[32:33], v[40:41] op_sel:[0,1] op_sel_hi:[1,0]
	v_pk_add_f32 v[32:33], v[32:33], v[40:41] op_sel:[0,1] op_sel_hi:[1,0] neg_lo:[0,1] neg_hi:[0,1]
	v_mov_b32_e32 v40, v42
	v_mov_b32_e32 v41, v33
	;; [unrolled: 1-line block ×3, first 2 shown]
	ds_write_b64 v223, v[32:33] offset:544
	v_mul_u32_u24_e32 v32, 0x66, v66
	v_add_lshl_u32 v227, v32, v67, 3
	s_waitcnt vmcnt(1)
	v_pk_mul_f32 v[32:33], v[28:29], v[20:21] op_sel:[0,1]
	ds_write2_b64 v223, v[36:37], v[40:41] offset1:34
	v_pk_fma_f32 v[36:37], v[28:29], v[20:21], v[32:33] op_sel:[0,0,1] op_sel_hi:[1,1,0] neg_lo:[0,0,1] neg_hi:[0,0,1]
	v_pk_fma_f32 v[28:29], v[28:29], v[20:21], v[32:33] op_sel:[0,0,1] op_sel_hi:[1,0,0]
	s_nop 0
	v_mov_b32_e32 v28, v23
	v_mov_b32_e32 v37, v29
	v_pk_mul_f32 v[28:29], v[38:39], v[28:29] op_sel_hi:[1,0]
	s_nop 0
	v_pk_fma_f32 v[32:33], v[38:39], v[22:23], v[28:29] op_sel:[0,0,1] op_sel_hi:[1,1,0] neg_lo:[0,0,1] neg_hi:[0,0,1]
	v_pk_fma_f32 v[28:29], v[38:39], v[22:23], v[28:29] op_sel:[0,0,1] op_sel_hi:[1,0,0]
	s_nop 0
	v_mov_b32_e32 v33, v29
	v_pk_add_f32 v[28:29], v[34:35], v[36:37]
	v_pk_add_f32 v[38:39], v[36:37], v[32:33]
	;; [unrolled: 1-line block ×3, first 2 shown]
	v_pk_add_f32 v[32:33], v[36:37], v[32:33] neg_lo:[0,1] neg_hi:[0,1]
	v_pk_fma_f32 v[34:35], v[38:39], 0.5, v[34:35] op_sel_hi:[1,0,1] neg_lo:[1,0,0] neg_hi:[1,0,0]
	v_pk_mul_f32 v[32:33], v[32:33], s[14:15] op_sel_hi:[1,0]
	s_nop 0
	v_pk_add_f32 v[36:37], v[34:35], v[32:33] op_sel:[0,1] op_sel_hi:[1,0]
	v_pk_add_f32 v[32:33], v[34:35], v[32:33] op_sel:[0,1] op_sel_hi:[1,0] neg_lo:[0,1] neg_hi:[0,1]
	v_mov_b32_e32 v34, v36
	v_mov_b32_e32 v35, v33
	ds_write2_b64 v227, v[28:29], v[34:35] offset1:34
	v_mul_u32_u24_e32 v28, 0x66, v62
	v_mov_b32_e32 v33, v37
	v_add_lshl_u32 v228, v28, v63, 3
	s_waitcnt vmcnt(0)
	v_pk_mul_f32 v[28:29], v[30:31], v[12:13] op_sel:[0,1]
	ds_write_b64 v227, v[32:33] offset:544
	v_pk_fma_f32 v[32:33], v[30:31], v[12:13], v[28:29] op_sel:[0,0,1] op_sel_hi:[1,1,0] neg_lo:[0,0,1] neg_hi:[0,0,1]
	v_pk_fma_f32 v[28:29], v[30:31], v[12:13], v[28:29] op_sel:[0,0,1] op_sel_hi:[1,0,0]
	s_nop 0
	v_mov_b32_e32 v28, v15
	v_mov_b32_e32 v33, v29
	v_pk_mul_f32 v[28:29], v[82:83], v[28:29] op_sel_hi:[1,0]
	s_nop 0
	v_pk_fma_f32 v[30:31], v[82:83], v[14:15], v[28:29] op_sel:[0,0,1] op_sel_hi:[1,1,0] neg_lo:[0,0,1] neg_hi:[0,0,1]
	v_pk_fma_f32 v[28:29], v[82:83], v[14:15], v[28:29] op_sel:[0,0,1] op_sel_hi:[1,0,0]
	s_nop 0
	v_mov_b32_e32 v31, v29
	v_pk_add_f32 v[28:29], v[24:25], v[32:33]
	v_pk_add_f32 v[34:35], v[32:33], v[30:31]
	;; [unrolled: 1-line block ×3, first 2 shown]
	v_pk_add_f32 v[30:31], v[32:33], v[30:31] neg_lo:[0,1] neg_hi:[0,1]
	v_pk_fma_f32 v[24:25], v[34:35], 0.5, v[24:25] op_sel_hi:[1,0,1] neg_lo:[1,0,0] neg_hi:[1,0,0]
	v_pk_mul_f32 v[30:31], v[30:31], s[14:15] op_sel_hi:[1,0]
	s_nop 0
	v_pk_add_f32 v[32:33], v[24:25], v[30:31] op_sel:[0,1] op_sel_hi:[1,0]
	v_pk_add_f32 v[24:25], v[24:25], v[30:31] op_sel:[0,1] op_sel_hi:[1,0] neg_lo:[0,1] neg_hi:[0,1]
	v_mov_b32_e32 v30, v32
	v_mov_b32_e32 v31, v25
	;; [unrolled: 1-line block ×3, first 2 shown]
	ds_write2_b64 v228, v[28:29], v[30:31] offset1:34
	ds_write_b64 v228, v[24:25] offset:544
	s_and_saveexec_b64 s[2:3], s[0:1]
	s_cbranch_execz .LBB0_11
; %bb.10:
	v_pk_add_f32 v[24:25], v[80:81], v[26:27]
	v_add_u32_e32 v26, 0x1000, v226
	v_pk_add_f32 v[24:25], v[24:25], v[52:53]
	ds_write2_b64 v26, v[24:25], v[116:117] offset0:202 offset1:236
	ds_write_b64 v226, v[78:79] offset:6256
.LBB0_11:
	s_or_b64 exec, exec, s[2:3]
	s_movk_i32 s2, 0xa1
	v_mul_u32_u24_e32 v25, 0xa0a1, v59
	s_waitcnt lgkmcnt(0)
	; wave barrier
	s_waitcnt lgkmcnt(0)
	global_load_dwordx2 v[86:87], v58, s[10:11] offset:1088
	global_load_dwordx2 v[80:81], v58, s[10:11] offset:680
	v_mul_lo_u16_sdwa v28, v92, s2 dst_sel:DWORD dst_unused:UNUSED_PAD src0_sel:BYTE_0 src1_sel:DWORD
	v_lshrrev_b32_e32 v25, 22, v25
	v_mul_u32_u24_e32 v26, 0xa0a1, v84
	v_mul_u32_u24_e32 v27, 0xa0a1, v85
	v_lshrrev_b16_e32 v28, 14, v28
	v_mul_lo_u16_e32 v25, 0x66, v25
	v_lshrrev_b32_e32 v26, 22, v26
	v_lshrrev_b32_e32 v27, 22, v27
	v_mul_lo_u16_e32 v28, 0x66, v28
	v_sub_u16_e32 v25, v59, v25
	v_mov_b32_e32 v24, 3
	v_mul_lo_u16_e32 v26, 0x66, v26
	v_mul_lo_u16_e32 v27, 0x66, v27
	v_lshlrev_b32_e32 v221, 3, v25
	v_sub_u16_e32 v25, v92, v28
	v_sub_u16_e32 v26, v84, v26
	;; [unrolled: 1-line block ×3, first 2 shown]
	v_lshlrev_b32_sdwa v222, v24, v25 dst_sel:DWORD dst_unused:UNUSED_PAD src0_sel:DWORD src1_sel:BYTE_0
	v_lshlrev_b32_e32 v83, 3, v26
	v_lshlrev_b32_e32 v82, 3, v27
	global_load_dwordx2 v[84:85], v221, s[10:11] offset:680
	global_load_dwordx2 v[88:89], v83, s[10:11] offset:680
	;; [unrolled: 1-line block ×4, first 2 shown]
	ds_read2_b64 v[24:27], v189 offset0:102 offset1:153
	v_add_u32_e32 v56, 0xc00, v189
	ds_read2_b64 v[28:31], v189 offset1:51
	v_add_u32_e32 v57, 0x800, v189
	v_add_u32_e32 v62, 0x1000, v189
	ds_read2_b64 v[32:35], v189 offset0:204 offset1:255
	ds_read2_b64 v[36:39], v56 offset0:126 offset1:177
	;; [unrolled: 1-line block ×6, first 2 shown]
	s_waitcnt lgkmcnt(0)
	; wave barrier
	s_waitcnt lgkmcnt(0)
	v_mov_b32_e32 v59, v55
	s_movk_i32 s16, 0x1000
	s_waitcnt vmcnt(5)
	v_pk_mul_f32 v[52:53], v[38:39], v[86:87] op_sel:[0,1]
	s_waitcnt vmcnt(4)
	v_pk_mul_f32 v[60:61], v[40:41], v[80:81] op_sel:[0,1]
	v_pk_mul_f32 v[96:97], v[42:43], v[86:87] op_sel:[0,1]
	;; [unrolled: 1-line block ×3, first 2 shown]
	v_pk_fma_f32 v[100:101], v[38:39], v[86:87], v[52:53] op_sel:[0,0,1] op_sel_hi:[1,1,0] neg_lo:[0,0,1] neg_hi:[0,0,1]
	v_pk_fma_f32 v[38:39], v[38:39], v[86:87], v[52:53] op_sel:[0,0,1] op_sel_hi:[1,0,0]
	v_pk_fma_f32 v[52:53], v[40:41], v[80:81], v[60:61] op_sel:[0,0,1] op_sel_hi:[1,1,0] neg_lo:[0,0,1] neg_hi:[0,0,1]
	v_pk_fma_f32 v[40:41], v[40:41], v[80:81], v[60:61] op_sel:[0,0,1] op_sel_hi:[1,0,0]
	;; [unrolled: 2-line block ×4, first 2 shown]
	v_mov_b32_e32 v53, v41
	v_mov_b32_e32 v61, v43
	;; [unrolled: 1-line block ×4, first 2 shown]
	v_pk_add_f32 v[38:39], v[28:29], v[52:53] neg_lo:[0,1] neg_hi:[0,1]
	v_pk_add_f32 v[40:41], v[30:31], v[60:61] neg_lo:[0,1] neg_hi:[0,1]
	v_pk_add_f32 v[42:43], v[24:25], v[96:97] neg_lo:[0,1] neg_hi:[0,1]
	v_pk_add_f32 v[36:37], v[26:27], v[100:101] neg_lo:[0,1] neg_hi:[0,1]
	v_pk_fma_f32 v[28:29], v[28:29], 2.0, v[38:39] op_sel_hi:[1,0,1] neg_lo:[0,0,1] neg_hi:[0,0,1]
	v_pk_fma_f32 v[30:31], v[30:31], 2.0, v[40:41] op_sel_hi:[1,0,1] neg_lo:[0,0,1] neg_hi:[0,0,1]
	;; [unrolled: 1-line block ×3, first 2 shown]
	ds_write2_b64 v189, v[38:39], v[40:41] offset0:102 offset1:153
	v_pk_fma_f32 v[26:27], v[26:27], 2.0, v[36:37] op_sel_hi:[1,0,1] neg_lo:[0,0,1] neg_hi:[0,0,1]
	ds_write2_b64 v189, v[28:29], v[30:31] offset1:51
	ds_write2_b64 v189, v[24:25], v[26:27] offset0:204 offset1:255
	s_waitcnt vmcnt(1)
	v_pk_mul_f32 v[24:25], v[50:51], v[90:91] op_sel:[0,1]
	s_waitcnt vmcnt(0)
	v_pk_mul_f32 v[30:31], v[92:93], v[224:225] op_sel:[0,1]
	v_pk_mul_f32 v[26:27], v[48:49], v[88:89] op_sel:[0,1]
	;; [unrolled: 1-line block ×3, first 2 shown]
	v_pk_fma_f32 v[38:39], v[50:51], v[90:91], v[24:25] op_sel:[0,0,1] op_sel_hi:[1,1,0] neg_lo:[0,0,1] neg_hi:[0,0,1]
	v_pk_fma_f32 v[24:25], v[50:51], v[90:91], v[24:25] op_sel:[0,0,1] op_sel_hi:[1,0,0]
	v_pk_fma_f32 v[50:51], v[92:93], v[224:225], v[30:31] op_sel:[0,0,1] op_sel_hi:[1,1,0] neg_lo:[0,0,1] neg_hi:[0,0,1]
	v_pk_fma_f32 v[30:31], v[92:93], v[224:225], v[30:31] op_sel:[0,0,1] op_sel_hi:[1,0,0]
	;; [unrolled: 2-line block ×4, first 2 shown]
	v_mov_b32_e32 v51, v31
	v_mov_b32_e32 v49, v29
	v_pk_add_f32 v[30:31], v[32:33], v[50:51] neg_lo:[0,1] neg_hi:[0,1]
	v_mov_b32_e32 v41, v27
	v_pk_add_f32 v[28:29], v[34:35], v[48:49] neg_lo:[0,1] neg_hi:[0,1]
	v_pk_fma_f32 v[32:33], v[32:33], 2.0, v[30:31] op_sel_hi:[1,0,1] neg_lo:[0,0,1] neg_hi:[0,0,1]
	ds_write2_b64 v57, v[42:43], v[36:37] offset0:50 offset1:101
	v_add_u32_e32 v36, 0x800, v222
	v_mov_b32_e32 v39, v25
	v_pk_add_f32 v[26:27], v[44:45], v[40:41] neg_lo:[0,1] neg_hi:[0,1]
	ds_write2_b64 v36, v[32:33], v[30:31] offset0:152 offset1:254
	v_pk_fma_f32 v[30:31], v[34:35], 2.0, v[28:29] op_sel_hi:[1,0,1] neg_lo:[0,0,1] neg_hi:[0,0,1]
	v_add_u32_e32 v32, 0x800, v221
	v_pk_add_f32 v[24:25], v[46:47], v[38:39] neg_lo:[0,1] neg_hi:[0,1]
	ds_write2_b64 v32, v[30:31], v[28:29] offset0:152 offset1:254
	v_pk_fma_f32 v[28:29], v[44:45], 2.0, v[26:27] op_sel_hi:[1,0,1] neg_lo:[0,0,1] neg_hi:[0,0,1]
	v_add_u32_e32 v30, 0x1000, v83
	ds_write2_b64 v30, v[28:29], v[26:27] offset0:100 offset1:202
	v_pk_fma_f32 v[26:27], v[46:47], 2.0, v[24:25] op_sel_hi:[1,0,1] neg_lo:[0,0,1] neg_hi:[0,0,1]
	v_add_u32_e32 v28, 0x1000, v82
	ds_write2_b64 v28, v[26:27], v[24:25] offset0:100 offset1:202
	s_waitcnt lgkmcnt(0)
	; wave barrier
	s_waitcnt lgkmcnt(0)
	global_load_dwordx2 v[98:99], v58, s[10:11] offset:2720
	global_load_dwordx2 v[96:97], v58, s[10:11] offset:2312
	;; [unrolled: 1-line block ×4, first 2 shown]
	ds_read2_b64 v[24:27], v189 offset0:102 offset1:153
	ds_read2_b64 v[28:31], v56 offset0:126 offset1:177
	ds_read2_b64 v[32:35], v189 offset1:51
	ds_read2_b64 v[36:39], v57 offset0:152 offset1:203
	ds_read2_b64 v[40:43], v57 offset0:50 offset1:101
	;; [unrolled: 1-line block ×5, first 2 shown]
	v_lshl_add_u64 v[60:61], s[10:11], 0, v[58:59]
	s_waitcnt lgkmcnt(0)
	; wave barrier
	s_waitcnt vmcnt(3) lgkmcnt(0)
	v_pk_mul_f32 v[100:101], v[30:31], v[98:99] op_sel:[0,1]
	s_waitcnt vmcnt(2)
	v_pk_mul_f32 v[102:103], v[28:29], v[96:97] op_sel:[0,1]
	s_waitcnt vmcnt(1)
	;; [unrolled: 2-line block ×3, first 2 shown]
	v_pk_mul_f32 v[106:107], v[38:39], v[94:95] op_sel:[0,1]
	v_pk_mul_f32 v[108:109], v[46:47], v[98:99] op_sel:[0,1]
	;; [unrolled: 1-line block ×5, first 2 shown]
	v_pk_fma_f32 v[118:119], v[30:31], v[98:99], v[100:101] op_sel:[0,0,1] op_sel_hi:[1,1,0] neg_lo:[0,0,1] neg_hi:[0,0,1]
	v_pk_fma_f32 v[30:31], v[30:31], v[98:99], v[100:101] op_sel:[0,0,1] op_sel_hi:[1,0,0]
	v_pk_fma_f32 v[100:101], v[28:29], v[96:97], v[102:103] op_sel:[0,0,1] op_sel_hi:[1,1,0] neg_lo:[0,0,1] neg_hi:[0,0,1]
	v_pk_fma_f32 v[28:29], v[28:29], v[96:97], v[102:103] op_sel:[0,0,1] op_sel_hi:[1,0,0]
	v_pk_fma_f32 v[102:103], v[36:37], v[92:93], v[104:105] op_sel:[0,0,1] op_sel_hi:[1,1,0] neg_lo:[0,0,1] neg_hi:[0,0,1]
	v_pk_fma_f32 v[36:37], v[36:37], v[92:93], v[104:105] op_sel:[0,0,1] op_sel_hi:[1,0,0]
	v_pk_fma_f32 v[104:105], v[38:39], v[94:95], v[106:107] op_sel:[0,0,1] op_sel_hi:[1,1,0] neg_lo:[0,0,1] neg_hi:[0,0,1]
	v_pk_fma_f32 v[38:39], v[38:39], v[94:95], v[106:107] op_sel:[0,0,1] op_sel_hi:[1,0,0]
	v_pk_fma_f32 v[106:107], v[46:47], v[98:99], v[108:109] op_sel:[0,0,1] op_sel_hi:[1,1,0] neg_lo:[0,0,1] neg_hi:[0,0,1]
	v_pk_fma_f32 v[46:47], v[46:47], v[98:99], v[108:109] op_sel:[0,0,1] op_sel_hi:[1,0,0]
	v_pk_fma_f32 v[108:109], v[44:45], v[96:97], v[110:111] op_sel:[0,0,1] op_sel_hi:[1,1,0] neg_lo:[0,0,1] neg_hi:[0,0,1]
	v_pk_fma_f32 v[44:45], v[44:45], v[96:97], v[110:111] op_sel:[0,0,1] op_sel_hi:[1,0,0]
	v_pk_fma_f32 v[110:111], v[54:55], v[94:95], v[112:113] op_sel:[0,0,1] op_sel_hi:[1,1,0] neg_lo:[0,0,1] neg_hi:[0,0,1]
	v_pk_fma_f32 v[54:55], v[54:55], v[94:95], v[112:113] op_sel:[0,0,1] op_sel_hi:[1,0,0]
	v_pk_fma_f32 v[112:113], v[52:53], v[92:93], v[114:115] op_sel:[0,0,1] op_sel_hi:[1,1,0] neg_lo:[0,0,1] neg_hi:[0,0,1]
	v_pk_fma_f32 v[52:53], v[52:53], v[92:93], v[114:115] op_sel:[0,0,1] op_sel_hi:[1,0,0]
	v_mov_b32_e32 v101, v29
	v_mov_b32_e32 v103, v37
	;; [unrolled: 1-line block ×8, first 2 shown]
	v_pk_add_f32 v[30:31], v[24:25], v[100:101] neg_lo:[0,1] neg_hi:[0,1]
	v_pk_add_f32 v[36:37], v[32:33], v[102:103] neg_lo:[0,1] neg_hi:[0,1]
	;; [unrolled: 1-line block ×8, first 2 shown]
	v_pk_fma_f32 v[32:33], v[32:33], 2.0, v[36:37] op_sel_hi:[1,0,1] neg_lo:[0,0,1] neg_hi:[0,0,1]
	v_pk_fma_f32 v[34:35], v[34:35], 2.0, v[38:39] op_sel_hi:[1,0,1] neg_lo:[0,0,1] neg_hi:[0,0,1]
	;; [unrolled: 1-line block ×4, first 2 shown]
	ds_write2_b64 v189, v[36:37], v[38:39] offset0:204 offset1:255
	ds_write2_b64 v57, v[30:31], v[28:29] offset0:50 offset1:101
	v_pk_fma_f32 v[28:29], v[48:49], 2.0, v[54:55] op_sel_hi:[1,0,1] neg_lo:[0,0,1] neg_hi:[0,0,1]
	v_pk_fma_f32 v[30:31], v[50:51], 2.0, v[52:53] op_sel_hi:[1,0,1] neg_lo:[0,0,1] neg_hi:[0,0,1]
	ds_write2_b64 v62, v[54:55], v[52:53] offset0:100 offset1:151
	v_pk_fma_f32 v[36:37], v[40:41], 2.0, v[46:47] op_sel_hi:[1,0,1] neg_lo:[0,0,1] neg_hi:[0,0,1]
	v_pk_fma_f32 v[38:39], v[42:43], 2.0, v[44:45] op_sel_hi:[1,0,1] neg_lo:[0,0,1] neg_hi:[0,0,1]
	ds_write2_b64 v189, v[32:33], v[34:35] offset1:51
	ds_write2_b64 v189, v[24:25], v[26:27] offset0:102 offset1:153
	ds_write2_b64 v57, v[28:29], v[30:31] offset0:152 offset1:203
	;; [unrolled: 1-line block ×4, first 2 shown]
	v_add_co_u32_e64 v24, s[2:3], s16, v60
	s_waitcnt lgkmcnt(0)
	; wave barrier
	s_waitcnt lgkmcnt(0)
	global_load_dwordx2 v[112:113], v58, s[10:11] offset:3128
	v_addc_co_u32_e64 v25, s[2:3], 0, v61, s[2:3]
	global_load_dwordx2 v[104:105], v[24:25], off offset:664
	global_load_dwordx2 v[114:115], v58, s[10:11] offset:3536
	global_load_dwordx2 v[110:111], v58, s[10:11] offset:3944
	global_load_dwordx2 v[108:109], v[24:25], off offset:256
	global_load_dwordx2 v[106:107], v[24:25], off offset:1072
	;; [unrolled: 1-line block ×4, first 2 shown]
	ds_read2_b64 v[48:51], v189 offset1:51
	ds_read2_b64 v[24:27], v57 offset0:152 offset1:203
	ds_read2_b64 v[28:31], v62 offset0:100 offset1:151
	;; [unrolled: 1-line block ×7, first 2 shown]
	s_waitcnt vmcnt(6)
	v_mov_b32_e32 v44, v105
	s_waitcnt lgkmcnt(5)
	v_pk_mul_f32 v[46:47], v[28:29], v[104:105] op_sel:[1,0] op_sel_hi:[0,1]
	s_waitcnt vmcnt(5)
	v_pk_mul_f32 v[52:53], v[26:27], v[114:115] op_sel:[0,1]
	v_mov_b32_e32 v40, v113
	v_pk_mul_f32 v[42:43], v[24:25], v[112:113] op_sel:[1,0] op_sel_hi:[0,1]
	s_waitcnt vmcnt(4) lgkmcnt(3)
	v_pk_mul_f32 v[54:55], v[32:33], v[110:111] op_sel:[0,1]
	s_waitcnt vmcnt(3)
	v_pk_mul_f32 v[60:61], v[34:35], v[108:109] op_sel:[0,1]
	s_waitcnt vmcnt(2)
	v_pk_mul_f32 v[130:131], v[30:31], v[106:107] op_sel:[0,1]
	s_waitcnt vmcnt(1) lgkmcnt(0)
	v_pk_mul_f32 v[132:133], v[36:37], v[102:103] op_sel:[0,1]
	s_waitcnt vmcnt(0)
	v_pk_mul_f32 v[134:135], v[38:39], v[100:101] op_sel:[0,1]
	v_pk_mul_f32 v[40:41], v[24:25], v[40:41] op_sel:[1,0] op_sel_hi:[0,1]
	v_mov_b32_e32 v43, v42
	v_pk_mul_f32 v[44:45], v[28:29], v[44:45] op_sel:[1,0] op_sel_hi:[0,1]
	v_mov_b32_e32 v47, v46
	v_pk_fma_f32 v[136:137], v[26:27], v[114:115], v[52:53] op_sel:[0,0,1] op_sel_hi:[1,1,0] neg_lo:[0,0,1] neg_hi:[0,0,1]
	v_pk_fma_f32 v[26:27], v[26:27], v[114:115], v[52:53] op_sel:[0,0,1] op_sel_hi:[1,0,0]
	v_pk_fma_f32 v[52:53], v[32:33], v[110:111], v[54:55] op_sel:[0,0,1] op_sel_hi:[1,1,0] neg_lo:[0,0,1] neg_hi:[0,0,1]
	v_pk_fma_f32 v[32:33], v[32:33], v[110:111], v[54:55] op_sel:[0,0,1] op_sel_hi:[1,0,0]
	;; [unrolled: 2-line block ×6, first 2 shown]
	v_pk_fma_f32 v[40:41], v[24:25], v[112:113], v[40:41] neg_lo:[0,0,1] neg_hi:[0,0,1]
	v_pk_fma_f32 v[24:25], v[24:25], v[112:113], v[42:43] op_sel:[1,0,0] op_sel_hi:[0,1,1]
	v_pk_fma_f32 v[44:45], v[28:29], v[104:105], v[44:45] neg_lo:[0,0,1] neg_hi:[0,0,1]
	v_pk_fma_f32 v[28:29], v[28:29], v[104:105], v[46:47] op_sel:[1,0,0] op_sel_hi:[0,1,1]
	v_mov_b32_e32 v137, v27
	v_mov_b32_e32 v53, v33
	;; [unrolled: 1-line block ×7, first 2 shown]
	v_pk_add_f32 v[30:31], v[50:51], v[136:137] neg_lo:[0,1] neg_hi:[0,1]
	v_mov_b32_e32 v45, v29
	v_pk_add_f32 v[34:35], v[118:119], v[52:53] neg_lo:[0,1] neg_hi:[0,1]
	v_pk_add_f32 v[38:39], v[120:121], v[54:55] neg_lo:[0,1] neg_hi:[0,1]
	;; [unrolled: 1-line block ×6, first 2 shown]
	v_pk_fma_f32 v[28:29], v[50:51], 2.0, v[30:31] op_sel_hi:[1,0,1] neg_lo:[0,0,1] neg_hi:[0,0,1]
	v_pk_add_f32 v[50:51], v[122:123], v[44:45] neg_lo:[0,1] neg_hi:[0,1]
	v_pk_fma_f32 v[32:33], v[118:119], 2.0, v[34:35] op_sel_hi:[1,0,1] neg_lo:[0,0,1] neg_hi:[0,0,1]
	v_pk_fma_f32 v[36:37], v[120:121], 2.0, v[38:39] op_sel_hi:[1,0,1] neg_lo:[0,0,1] neg_hi:[0,0,1]
	;; [unrolled: 1-line block ×7, first 2 shown]
	ds_write2_b64 v56, v[34:35], v[38:39] offset0:126 offset1:177
	ds_write2_b64 v62, v[46:47], v[54:55] offset0:202 offset1:253
	;; [unrolled: 1-line block ×6, first 2 shown]
	ds_write2_b64 v189, v[24:25], v[28:29] offset1:51
	ds_write2_b64 v189, v[48:49], v[40:41] offset0:204 offset1:255
	s_waitcnt lgkmcnt(0)
	; wave barrier
	s_waitcnt lgkmcnt(0)
	s_and_saveexec_b64 s[10:11], vcc
	s_cbranch_execz .LBB0_13
; %bb.12:
	s_add_u32 s14, s8, 0x1980
	s_addc_u32 s15, s9, 0
	global_load_dwordx2 v[118:119], v58, s[14:15]
	ds_read_b64 v[60:61], v189
	v_mov_b32_e32 v59, 0
	v_lshl_add_u64 v[122:123], s[14:15], 0, v[58:59]
	s_waitcnt vmcnt(0) lgkmcnt(0)
	v_mul_f32_e32 v56, v61, v119
	v_mul_f32_e32 v121, v60, v119
	v_fma_f32 v120, v60, v118, -v56
	v_fmac_f32_e32 v121, v61, v118
	global_load_dwordx2 v[60:61], v58, s[14:15] offset:384
	ds_write_b64 v189, v[120:121]
	ds_read2_b64 v[118:121], v58 offset0:48 offset1:96
	s_waitcnt vmcnt(0) lgkmcnt(0)
	v_mul_f32_e32 v56, v119, v61
	v_mul_f32_e32 v125, v118, v61
	v_fma_f32 v124, v118, v60, -v56
	v_fmac_f32_e32 v125, v119, v60
	global_load_dwordx2 v[60:61], v58, s[14:15] offset:768
	s_waitcnt vmcnt(0)
	v_mul_f32_e32 v56, v121, v61
	v_mul_f32_e32 v119, v120, v61
	v_fma_f32 v118, v120, v60, -v56
	v_fmac_f32_e32 v119, v121, v60
	global_load_dwordx2 v[60:61], v58, s[14:15] offset:1152
	ds_write2_b64 v58, v[124:125], v[118:119] offset0:48 offset1:96
	ds_read2_b64 v[118:121], v58 offset0:144 offset1:192
	s_waitcnt vmcnt(0) lgkmcnt(0)
	v_mul_f32_e32 v56, v119, v61
	v_mul_f32_e32 v125, v118, v61
	v_fma_f32 v124, v118, v60, -v56
	v_fmac_f32_e32 v125, v119, v60
	global_load_dwordx2 v[60:61], v58, s[14:15] offset:1536
	s_waitcnt vmcnt(0)
	v_mul_f32_e32 v56, v121, v61
	v_mul_f32_e32 v119, v120, v61
	v_fma_f32 v118, v120, v60, -v56
	v_fmac_f32_e32 v119, v121, v60
	global_load_dwordx2 v[60:61], v58, s[14:15] offset:1920
	v_add_u32_e32 v56, 0x400, v58
	ds_write2_b64 v58, v[124:125], v[118:119] offset0:144 offset1:192
	ds_read2_b64 v[118:121], v56 offset0:112 offset1:160
	s_waitcnt vmcnt(0) lgkmcnt(0)
	v_mul_f32_e32 v57, v119, v61
	v_mul_f32_e32 v125, v118, v61
	v_fma_f32 v124, v118, v60, -v57
	v_fmac_f32_e32 v125, v119, v60
	global_load_dwordx2 v[60:61], v58, s[14:15] offset:2304
	s_waitcnt vmcnt(0)
	v_mul_f32_e32 v57, v121, v61
	v_mul_f32_e32 v119, v120, v61
	v_fma_f32 v118, v120, v60, -v57
	v_fmac_f32_e32 v119, v121, v60
	global_load_dwordx2 v[60:61], v58, s[14:15] offset:2688
	ds_write2_b64 v56, v[124:125], v[118:119] offset0:112 offset1:160
	v_add_u32_e32 v56, 0x800, v58
	ds_read2_b64 v[118:121], v56 offset0:80 offset1:128
	s_waitcnt vmcnt(0) lgkmcnt(0)
	v_mul_f32_e32 v57, v119, v61
	v_mul_f32_e32 v125, v118, v61
	v_fma_f32 v124, v118, v60, -v57
	v_fmac_f32_e32 v125, v119, v60
	global_load_dwordx2 v[60:61], v58, s[14:15] offset:3072
	s_waitcnt vmcnt(0)
	v_mul_f32_e32 v57, v121, v61
	v_mul_f32_e32 v119, v120, v61
	v_fma_f32 v118, v120, v60, -v57
	v_fmac_f32_e32 v119, v121, v60
	global_load_dwordx2 v[60:61], v58, s[14:15] offset:3456
	ds_write2_b64 v56, v[124:125], v[118:119] offset0:80 offset1:128
	ds_read2_b64 v[118:121], v56 offset0:176 offset1:224
	s_waitcnt vmcnt(0) lgkmcnt(0)
	v_mul_f32_e32 v57, v119, v61
	v_mul_f32_e32 v125, v118, v61
	v_fma_f32 v124, v118, v60, -v57
	v_fmac_f32_e32 v125, v119, v60
	global_load_dwordx2 v[60:61], v58, s[14:15] offset:3840
	s_waitcnt vmcnt(0)
	v_mul_f32_e32 v57, v121, v61
	v_mul_f32_e32 v119, v120, v61
	v_fma_f32 v118, v120, v60, -v57
	v_fmac_f32_e32 v119, v121, v60
	v_add_co_u32_e64 v60, s[2:3], s16, v122
	ds_write2_b64 v56, v[124:125], v[118:119] offset0:176 offset1:224
	s_nop 0
	v_addc_co_u32_e64 v61, s[2:3], 0, v123, s[2:3]
	global_load_dwordx2 v[122:123], v[60:61], off offset:128
	v_add_u32_e32 v56, 0x1000, v58
	ds_read2_b64 v[118:121], v56 offset0:16 offset1:64
	s_waitcnt vmcnt(0) lgkmcnt(0)
	v_mul_f32_e32 v57, v119, v123
	v_fma_f32 v124, v118, v122, -v57
	v_mul_f32_e32 v125, v118, v123
	v_or_b32_e32 v57, 0x1200, v58
	v_fmac_f32_e32 v125, v119, v122
	global_load_dwordx2 v[118:119], v57, s[14:15]
	s_waitcnt vmcnt(0)
	v_mul_f32_e32 v57, v121, v119
	v_mul_f32_e32 v123, v120, v119
	v_fma_f32 v122, v120, v118, -v57
	v_fmac_f32_e32 v123, v121, v118
	ds_write2_b64 v56, v[124:125], v[122:123] offset0:16 offset1:64
	global_load_dwordx2 v[122:123], v[60:61], off offset:896
	ds_read2_b64 v[118:121], v56 offset0:112 offset1:160
	s_waitcnt vmcnt(0) lgkmcnt(0)
	v_mul_f32_e32 v57, v119, v123
	v_mul_f32_e32 v125, v118, v123
	v_fma_f32 v124, v118, v122, -v57
	v_fmac_f32_e32 v125, v119, v122
	global_load_dwordx2 v[118:119], v[60:61], off offset:1280
	s_waitcnt vmcnt(0)
	v_mul_f32_e32 v57, v121, v119
	global_load_dwordx2 v[60:61], v[60:61], off offset:1664
	v_mul_f32_e32 v123, v120, v119
	v_fma_f32 v122, v120, v118, -v57
	v_fmac_f32_e32 v123, v121, v118
	ds_write2_b64 v56, v[124:125], v[122:123] offset0:112 offset1:160
	v_add_u32_e32 v56, 0x1400, v58
	ds_read2_b64 v[118:121], v56 offset0:80 offset1:128
	s_waitcnt vmcnt(0) lgkmcnt(0)
	v_mul_f32_e32 v57, v119, v61
	v_fma_f32 v122, v118, v60, -v57
	v_mul_f32_e32 v123, v118, v61
	v_or_b32_e32 v57, 0x1800, v58
	v_fmac_f32_e32 v123, v119, v60
	global_load_dwordx2 v[60:61], v57, s[14:15]
	s_waitcnt vmcnt(0)
	v_mul_f32_e32 v57, v121, v61
	v_mul_f32_e32 v119, v120, v61
	v_fma_f32 v118, v120, v60, -v57
	v_fmac_f32_e32 v119, v121, v60
	ds_write2_b64 v56, v[122:123], v[118:119] offset0:80 offset1:128
.LBB0_13:
	s_or_b64 exec, exec, s[10:11]
	s_waitcnt lgkmcnt(0)
	; wave barrier
	s_waitcnt lgkmcnt(0)
	s_and_saveexec_b64 s[2:3], vcc
	s_cbranch_execz .LBB0_15
; %bb.14:
	v_add_u32_e32 v40, 0x800, v189
	ds_read2_b64 v[24:27], v189 offset1:48
	ds_read2_b64 v[28:31], v189 offset0:96 offset1:144
	ds_read2_b64 v[32:35], v189 offset0:192 offset1:240
	;; [unrolled: 1-line block ×4, first 2 shown]
	v_add_u32_e32 v40, 0xc00, v189
	v_add_u32_e32 v52, 0x1000, v189
	ds_read2_b64 v[40:43], v40 offset0:96 offset1:144
	ds_read2_b64 v[44:47], v52 offset0:64 offset1:112
	;; [unrolled: 1-line block ×3, first 2 shown]
	ds_read_b64 v[116:117], v189 offset:6144
.LBB0_15:
	s_or_b64 exec, exec, s[2:3]
	s_waitcnt lgkmcnt(1)
	v_pk_add_f32 v[60:61], v[28:29], v[54:55] neg_lo:[0,1] neg_hi:[0,1]
	v_pk_add_f32 v[162:163], v[28:29], v[54:55]
	v_mov_b32_e32 v137, v60
	v_mov_b32_e32 v136, v162
	v_mov_b32_e32 v162, v61
	v_pk_add_f32 v[60:61], v[30:31], v[52:53] neg_lo:[0,1] neg_hi:[0,1]
	v_pk_add_f32 v[160:161], v[30:31], v[52:53]
	v_mov_b32_e32 v139, v60
	v_mov_b32_e32 v138, v160
	v_mov_b32_e32 v160, v61
	;; [unrolled: 5-line block ×5, first 2 shown]
	v_pk_add_f32 v[60:61], v[38:39], v[40:41] neg_lo:[0,1] neg_hi:[0,1]
	v_pk_add_f32 v[152:153], v[38:39], v[40:41]
	s_waitcnt lgkmcnt(0)
	v_pk_add_f32 v[164:165], v[116:117], v[26:27]
	v_pk_add_f32 v[166:167], v[26:27], v[116:117] neg_lo:[0,1] neg_hi:[0,1]
	v_mov_b32_e32 v146, v152
	v_mov_b32_e32 v147, v60
	;; [unrolled: 1-line block ×3, first 2 shown]
	v_pk_add_f32 v[60:61], v[48:49], v[50:51] neg_lo:[0,1] neg_hi:[0,1]
	v_pk_add_f32 v[150:151], v[48:49], v[50:51]
	s_mov_b32 s46, 0xbeb8f4ab
	v_mov_b32_e32 v148, v150
	v_mov_b32_e32 v149, v60
	;; [unrolled: 1-line block ×5, first 2 shown]
	s_mov_b32 s47, 0x3f6eb680
	s_mov_b32 s52, 0xbf2c7751
	v_pk_mul_f32 v[60:61], v[60:61], s[46:47]
	v_mov_b32_e32 v182, v164
	v_mov_b32_e32 v183, v166
	s_mov_b32 s2, s47
	s_mov_b32 s3, s46
	;; [unrolled: 1-line block ×3, first 2 shown]
	v_pk_fma_f32 v[118:119], v[182:183], s[2:3], v[60:61] neg_lo:[0,0,1] neg_hi:[0,0,1]
	v_pk_fma_f32 v[168:169], v[182:183], s[2:3], v[60:61]
	v_pk_mul_f32 v[170:171], v[162:163], s[52:53]
	s_mov_b32 s24, s53
	s_mov_b32 s25, s52
	v_mov_b32_e32 v119, v169
	v_pk_fma_f32 v[174:175], v[136:137], s[24:25], v[170:171] neg_lo:[0,0,1] neg_hi:[0,0,1]
	v_pk_fma_f32 v[172:173], v[136:137], s[24:25], v[170:171]
	s_mov_b32 s58, 0xbf65296c
	v_pk_add_f32 v[118:119], v[24:25], v[118:119]
	v_mov_b32_e32 v175, v173
	s_mov_b32 s59, 0x3ee437d1
	v_pk_add_f32 v[118:119], v[174:175], v[118:119]
	v_pk_mul_f32 v[174:175], v[160:161], s[58:59]
	s_mov_b32 s20, s59
	s_mov_b32 s21, s58
	v_pk_fma_f32 v[178:179], v[138:139], s[20:21], v[174:175] neg_lo:[0,0,1] neg_hi:[0,0,1]
	v_pk_fma_f32 v[176:177], v[138:139], s[20:21], v[174:175]
	s_mov_b32 s54, 0xbf7ee86f
	v_mov_b32_e32 v179, v177
	s_mov_b32 s55, 0x3dbcf732
	v_pk_add_f32 v[118:119], v[178:179], v[118:119]
	v_pk_mul_f32 v[178:179], v[158:159], s[54:55]
	s_mov_b32 s10, s55
	s_mov_b32 s11, s54
	v_pk_fma_f32 v[184:185], v[140:141], s[10:11], v[178:179] neg_lo:[0,0,1] neg_hi:[0,0,1]
	v_pk_fma_f32 v[180:181], v[140:141], s[10:11], v[178:179]
	s_mov_b32 s38, 0xbf763a35
	v_mov_b32_e32 v185, v181
	s_mov_b32 s39, 0xbe8c1d8e
	v_pk_add_f32 v[118:119], v[184:185], v[118:119]
	v_pk_mul_f32 v[184:185], v[156:157], s[38:39]
	s_mov_b32 s34, s39
	s_mov_b32 s35, s38
	v_pk_fma_f32 v[190:191], v[142:143], s[34:35], v[184:185] neg_lo:[0,0,1] neg_hi:[0,0,1]
	v_pk_fma_f32 v[186:187], v[142:143], s[34:35], v[184:185]
	s_mov_b32 s44, 0xbf4c4adb
	v_mov_b32_e32 v191, v187
	s_mov_b32 s45, 0xbf1a4643
	v_pk_add_f32 v[118:119], v[190:191], v[118:119]
	v_pk_mul_f32 v[190:191], v[154:155], s[44:45]
	s_mov_b32 s14, s45
	s_mov_b32 s15, s44
	v_pk_fma_f32 v[194:195], v[144:145], s[14:15], v[190:191] neg_lo:[0,0,1] neg_hi:[0,0,1]
	v_pk_fma_f32 v[192:193], v[144:145], s[14:15], v[190:191]
	s_mov_b32 s48, 0xbf06c442
	v_mov_b32_e32 v195, v193
	s_mov_b32 s49, 0xbf59a7d5
	v_pk_add_f32 v[118:119], v[194:195], v[118:119]
	v_pk_mul_f32 v[194:195], v[152:153], s[48:49]
	s_mov_b32 s22, s49
	s_mov_b32 s23, s48
	v_pk_fma_f32 v[198:199], v[146:147], s[22:23], v[194:195] neg_lo:[0,0,1] neg_hi:[0,0,1]
	v_pk_fma_f32 v[196:197], v[146:147], s[22:23], v[194:195]
	s_mov_b32 s50, 0xbe3c28d5
	v_mov_b32_e32 v199, v197
	s_mov_b32 s51, 0xbf7ba420
	v_pk_add_f32 v[118:119], v[198:199], v[118:119]
	v_pk_mul_f32 v[198:199], v[150:151], s[50:51]
	s_mov_b32 s18, s51
	s_mov_b32 s19, s50
	v_pk_fma_f32 v[204:205], v[148:149], s[18:19], v[198:199] neg_lo:[0,0,1] neg_hi:[0,0,1]
	v_pk_fma_f32 v[200:201], v[148:149], s[18:19], v[198:199]
	v_mov_b32_e32 v134, v210
	v_mov_b32_e32 v205, v201
	;; [unrolled: 1-line block ×25, first 2 shown]
	v_pk_add_f32 v[118:119], v[204:205], v[118:119]
	s_waitcnt lgkmcnt(0)
	; wave barrier
	s_and_saveexec_b64 s[16:17], vcc
	s_cbranch_execz .LBB0_17
; %bb.16:
	v_pk_add_f32 v[26:27], v[26:27], v[24:25]
	v_pk_mul_f32 v[182:183], v[182:183], s[2:3]
	v_pk_add_f32 v[26:27], v[28:29], v[26:27]
	v_pk_mul_f32 v[204:205], v[136:137], s[24:25]
	v_pk_add_f32 v[26:27], v[30:31], v[26:27]
	v_accvgpr_write_b32 a10, v206
	v_pk_add_f32 v[26:27], v[32:33], v[26:27]
	v_pk_add_f32 v[28:29], v[60:61], v[182:183] neg_lo:[0,1] neg_hi:[0,1]
	v_pk_add_f32 v[26:27], v[34:35], v[26:27]
	v_accvgpr_write_b32 a11, v207
	v_pk_add_f32 v[26:27], v[36:37], v[26:27]
	v_pk_mul_f32 v[206:207], v[138:139], s[20:21]
	v_pk_add_f32 v[26:27], v[38:39], v[26:27]
	v_accvgpr_write_b32 a12, v208
	v_pk_add_f32 v[26:27], v[48:49], v[26:27]
	v_mov_b32_e32 v169, v29
	v_pk_add_f32 v[30:31], v[170:171], v[204:205] neg_lo:[0,1] neg_hi:[0,1]
	v_accvgpr_write_b32 a13, v209
	v_pk_mul_f32 v[208:209], v[140:141], s[10:11]
	v_accvgpr_write_b32 a14, v210
	v_pk_add_f32 v[26:27], v[50:51], v[26:27]
	v_pk_add_f32 v[28:29], v[24:25], v[168:169]
	v_mov_b32_e32 v173, v31
	v_pk_add_f32 v[30:31], v[174:175], v[206:207] neg_lo:[0,1] neg_hi:[0,1]
	v_accvgpr_write_b32 a15, v211
	v_pk_mul_f32 v[210:211], v[142:143], s[34:35]
	v_pk_add_f32 v[26:27], v[40:41], v[26:27]
	v_pk_add_f32 v[28:29], v[172:173], v[28:29]
	v_mov_b32_e32 v177, v31
	v_pk_add_f32 v[30:31], v[178:179], v[208:209] neg_lo:[0,1] neg_hi:[0,1]
	v_accvgpr_write_b32 a16, v212
	v_accvgpr_write_b32 a17, v213
	v_pk_mul_f32 v[212:213], v[144:145], s[14:15]
	v_pk_add_f32 v[26:27], v[42:43], v[26:27]
	v_pk_add_f32 v[28:29], v[176:177], v[28:29]
	v_mov_b32_e32 v181, v31
	v_pk_add_f32 v[30:31], v[184:185], v[210:211] neg_lo:[0,1] neg_hi:[0,1]
	v_accvgpr_write_b32 a18, v214
	;; [unrolled: 7-line block ×3, first 2 shown]
	v_accvgpr_write_b32 a21, v217
	v_pk_mul_f32 v[216:217], v[148:149], s[18:19]
	v_pk_add_f32 v[26:27], v[46:47], v[26:27]
	v_pk_add_f32 v[28:29], v[186:187], v[28:29]
	v_mov_b32_e32 v193, v31
	v_pk_add_f32 v[30:31], v[194:195], v[214:215] neg_lo:[0,1] neg_hi:[0,1]
	v_pk_add_f32 v[26:27], v[52:53], v[26:27]
	v_pk_add_f32 v[28:29], v[192:193], v[28:29]
	v_mov_b32_e32 v197, v31
	v_pk_add_f32 v[30:31], v[198:199], v[216:217] neg_lo:[0,1] neg_hi:[0,1]
	v_pk_add_f32 v[26:27], v[54:55], v[26:27]
	v_pk_add_f32 v[28:29], v[196:197], v[28:29]
	v_mov_b32_e32 v201, v31
	s_mov_b32 s26, s53
	v_accvgpr_write_b32 a24, v218
	v_accvgpr_write_b32 a25, v219
	v_pk_mul_f32 v[218:219], v[166:167], s[52:53] op_sel_hi:[1,0]
	v_lshlrev_b32_e32 v59, 3, v202
	v_pk_add_f32 v[26:27], v[116:117], v[26:27]
	v_pk_add_f32 v[28:29], v[200:201], v[28:29]
	ds_write2_b64 v59, v[26:27], v[28:29] offset1:1
	v_pk_fma_f32 v[26:27], v[164:165], s[26:27], v[218:219] op_sel:[0,0,1] op_sel_hi:[1,0,0]
	v_pk_fma_f32 v[28:29], v[164:165], s[26:27], v[218:219] op_sel:[0,0,1] op_sel_hi:[1,0,0] neg_lo:[0,0,1] neg_hi:[0,0,1]
	v_pk_mul_f32 v[34:35], v[162:163], s[54:55]
	v_accvgpr_write_b32 a35, v27
	v_mov_b32_e32 v27, v29
	v_pk_fma_f32 v[32:33], v[136:137], s[10:11], v[34:35]
	v_pk_fma_f32 v[30:31], v[136:137], s[10:11], v[34:35] neg_lo:[1,0,0] neg_hi:[1,0,0]
	v_accvgpr_write_b32 a41, v35
	v_pk_add_f32 v[26:27], v[24:25], v[26:27]
	v_accvgpr_write_b32 a40, v34
	v_mov_b32_e32 v30, v32
	v_pk_mul_f32 v[34:35], v[160:161], s[44:45]
	v_accvgpr_write_b32 a37, v33
	v_pk_add_f32 v[26:27], v[30:31], v[26:27]
	v_pk_fma_f32 v[32:33], v[138:139], s[14:15], v[34:35]
	v_pk_fma_f32 v[30:31], v[138:139], s[14:15], v[34:35] neg_lo:[1,0,0] neg_hi:[1,0,0]
	v_accvgpr_write_b32 a45, v35
	v_accvgpr_write_b32 a44, v34
	v_mov_b32_e32 v30, v32
	v_pk_mul_f32 v[34:35], v[158:159], s[50:51]
	s_mov_b32 s27, 0x3f06c442
	v_accvgpr_write_b32 a39, v33
	v_pk_add_f32 v[26:27], v[30:31], v[26:27]
	v_pk_fma_f32 v[32:33], v[140:141], s[18:19], v[34:35]
	v_pk_fma_f32 v[30:31], v[140:141], s[18:19], v[34:35] neg_lo:[1,0,0] neg_hi:[1,0,0]
	v_accvgpr_write_b32 a47, v35
	s_mov_b32 s68, s27
	s_mov_b32 s69, s49
	v_accvgpr_write_b32 a46, v34
	v_mov_b32_e32 v30, v32
	s_mov_b32 s26, s49
	v_pk_mul_f32 v[34:35], v[156:157], s[68:69]
	s_mov_b32 s29, 0x3f763a35
	v_accvgpr_write_b32 a43, v33
	v_pk_add_f32 v[26:27], v[30:31], v[26:27]
	v_pk_fma_f32 v[32:33], v[142:143], s[26:27], v[34:35]
	v_pk_fma_f32 v[30:31], v[142:143], s[26:27], v[34:35] neg_lo:[1,0,0] neg_hi:[1,0,0]
	v_accvgpr_write_b32 a51, v35
	s_mov_b32 s66, s29
	s_mov_b32 s67, s39
	v_accvgpr_write_b32 a50, v34
	v_mov_b32_e32 v30, v32
	s_mov_b32 s28, s39
	;; [unrolled: 12-line block ×4, first 2 shown]
	v_pk_mul_f32 v[34:35], v[150:151], s[62:63]
	v_accvgpr_write_b32 a57, v33
	v_pk_add_f32 v[26:27], v[30:31], v[26:27]
	v_pk_fma_f32 v[32:33], v[148:149], s[36:37], v[34:35]
	v_pk_fma_f32 v[30:31], v[148:149], s[36:37], v[34:35] neg_lo:[1,0,0] neg_hi:[1,0,0]
	s_mov_b32 s56, s59
	v_mov_b32_e32 v30, v32
	v_pk_add_f32 v[26:27], v[30:31], v[26:27]
	v_pk_mul_f32 v[30:31], v[166:167], s[58:59] op_sel_hi:[1,0]
	v_accvgpr_write_b32 a61, v33
	v_pk_mul_f32 v[200:201], v[162:163], s[44:45]
	s_mov_b32 s43, 0x3e3c28d5
	v_pk_fma_f32 v[32:33], v[164:165], s[56:57], v[30:31] op_sel:[0,0,1] op_sel_hi:[1,0,0]
	v_pk_fma_f32 v[184:185], v[164:165], s[56:57], v[30:31] op_sel:[0,0,1] op_sel_hi:[1,0,0] neg_lo:[0,0,1] neg_hi:[0,0,1]
	s_mov_b32 s40, s43
	s_mov_b32 s41, s51
	v_mov_b32_e32 v30, v32
	v_accvgpr_write_b32 a65, v33
	v_mov_b32_e32 v31, v185
	v_pk_fma_f32 v[32:33], v[136:137], s[14:15], v[200:201]
	v_pk_fma_f32 v[60:61], v[136:137], s[14:15], v[200:201] neg_lo:[1,0,0] neg_hi:[1,0,0]
	s_mov_b32 s42, s51
	v_pk_mul_f32 v[196:197], v[160:161], s[40:41]
	v_pk_add_f32 v[30:31], v[24:25], v[30:31]
	v_mov_b32_e32 v60, v32
	v_pk_add_f32 v[60:61], v[60:61], v[30:31]
	v_pk_fma_f32 v[30:31], v[138:139], s[42:43], v[196:197]
	v_pk_fma_f32 v[182:183], v[138:139], s[42:43], v[196:197] neg_lo:[1,0,0] neg_hi:[1,0,0]
	v_pk_mul_f32 v[204:205], v[158:159], s[66:67]
	s_mov_b32 s41, 0x3f2c7751
	v_mov_b32_e32 v182, v30
	s_mov_b32 s64, s41
	s_mov_b32 s65, s53
	v_accvgpr_write_b32 a69, v31
	v_pk_add_f32 v[60:61], v[182:183], v[60:61]
	v_pk_fma_f32 v[30:31], v[140:141], s[28:29], v[204:205]
	v_pk_fma_f32 v[182:183], v[140:141], s[28:29], v[204:205] neg_lo:[1,0,0] neg_hi:[1,0,0]
	s_mov_b32 s40, s53
	v_pk_mul_f32 v[198:199], v[156:157], s[64:65]
	v_mov_b32_e32 v182, v30
	v_accvgpr_write_b32 a71, v31
	v_pk_add_f32 v[60:61], v[182:183], v[60:61]
	v_pk_fma_f32 v[30:31], v[142:143], s[40:41], v[198:199]
	v_pk_fma_f32 v[182:183], v[142:143], s[40:41], v[198:199] neg_lo:[1,0,0] neg_hi:[1,0,0]
	v_pk_mul_f32 v[208:209], v[154:155], s[46:47]
	v_mov_b32_e32 v182, v30
	v_accvgpr_write_b32 a73, v31
	v_pk_add_f32 v[60:61], v[182:183], v[60:61]
	v_pk_fma_f32 v[30:31], v[144:145], s[2:3], v[208:209]
	v_pk_fma_f32 v[182:183], v[144:145], s[2:3], v[208:209] neg_lo:[1,0,0] neg_hi:[1,0,0]
	;; [unrolled: 6-line block ×4, first 2 shown]
	s_mov_b32 s56, s55
	v_mov_b32_e32 v182, v30
	v_pk_add_f32 v[60:61], v[182:183], v[60:61]
	ds_write2_b64 v59, v[26:27], v[60:61] offset0:2 offset1:3
	v_pk_mul_f32 v[26:27], v[166:167], s[54:55] op_sel_hi:[1,0]
	v_accvgpr_write_b32 a79, v31
	v_pk_fma_f32 v[30:31], v[164:165], s[56:57], v[26:27] op_sel:[0,0,1] op_sel_hi:[1,0,0]
	v_mov_b32_e32 v29, v203
	v_pk_fma_f32 v[202:203], v[164:165], s[56:57], v[26:27] op_sel:[0,0,1] op_sel_hi:[1,0,0] neg_lo:[0,0,1] neg_hi:[0,0,1]
	v_pk_mul_f32 v[206:207], v[162:163], s[50:51]
	v_mov_b32_e32 v26, v30
	v_mov_b32_e32 v185, v31
	;; [unrolled: 1-line block ×3, first 2 shown]
	v_pk_fma_f32 v[30:31], v[136:137], s[18:19], v[206:207]
	v_pk_fma_f32 v[60:61], v[136:137], s[18:19], v[206:207] neg_lo:[1,0,0] neg_hi:[1,0,0]
	v_pk_add_f32 v[26:27], v[24:25], v[26:27]
	v_mov_b32_e32 v60, v30
	v_pk_mul_f32 v[210:211], v[160:161], s[66:67]
	v_accvgpr_write_b32 a81, v31
	v_pk_add_f32 v[26:27], v[60:61], v[26:27]
	v_pk_fma_f32 v[30:31], v[138:139], s[28:29], v[210:211]
	v_pk_fma_f32 v[60:61], v[138:139], s[28:29], v[210:211] neg_lo:[1,0,0] neg_hi:[1,0,0]
	v_pk_mul_f32 v[214:215], v[158:159], s[62:63]
	v_mov_b32_e32 v60, v30
	v_accvgpr_write_b32 a83, v31
	v_pk_add_f32 v[26:27], v[60:61], v[26:27]
	v_pk_fma_f32 v[30:31], v[140:141], s[36:37], v[214:215]
	v_pk_fma_f32 v[60:61], v[140:141], s[36:37], v[214:215] neg_lo:[1,0,0] neg_hi:[1,0,0]
	v_pk_mul_f32 v[218:219], v[156:157], s[58:59]
	v_mov_b32_e32 v60, v30
	;; [unrolled: 6-line block ×3, first 2 shown]
	s_mov_b32 s57, 0x3f4c4adb
	v_accvgpr_write_b32 a87, v31
	v_pk_add_f32 v[26:27], v[60:61], v[26:27]
	v_pk_fma_f32 v[30:31], v[144:145], s[22:23], v[172:173]
	v_pk_fma_f32 v[60:61], v[144:145], s[22:23], v[172:173] neg_lo:[1,0,0] neg_hi:[1,0,0]
	s_mov_b32 s70, s57
	s_mov_b32 s71, s45
	v_mov_b32_e32 v60, v30
	s_mov_b32 s56, s45
	v_pk_mul_f32 v[170:171], v[152:153], s[70:71]
	v_accvgpr_write_b32 a89, v31
	v_pk_add_f32 v[26:27], v[60:61], v[26:27]
	v_pk_fma_f32 v[30:31], v[146:147], s[56:57], v[170:171]
	v_pk_fma_f32 v[60:61], v[146:147], s[56:57], v[170:171] neg_lo:[1,0,0] neg_hi:[1,0,0]
	v_pk_mul_f32 v[168:169], v[150:151], s[64:65]
	v_mov_b32_e32 v60, v30
	v_accvgpr_write_b32 a91, v31
	v_pk_add_f32 v[26:27], v[60:61], v[26:27]
	v_pk_fma_f32 v[30:31], v[148:149], s[40:41], v[168:169]
	v_pk_fma_f32 v[60:61], v[148:149], s[40:41], v[168:169] neg_lo:[1,0,0] neg_hi:[1,0,0]
	v_accvgpr_write_b32 a22, v78
	v_mov_b32_e32 v60, v30
	v_accvgpr_write_b32 a23, v79
	v_pk_add_f32 v[78:79], v[60:61], v[26:27]
	s_mov_b32 s72, s39
	v_pk_mul_f32 v[26:27], v[166:167], s[38:39] op_sel_hi:[1,0]
	v_pk_mul_f32 v[44:45], v[162:163], s[68:69]
	v_pk_fma_f32 v[194:195], v[164:165], s[72:73], v[26:27] op_sel:[0,0,1] op_sel_hi:[1,0,0]
	v_pk_fma_f32 v[248:249], v[164:165], s[72:73], v[26:27] op_sel:[0,0,1] op_sel_hi:[1,0,0] neg_lo:[0,0,1] neg_hi:[0,0,1]
	v_mov_b32_e32 v26, v194
	v_mov_b32_e32 v27, v249
	v_pk_fma_f32 v[192:193], v[136:137], s[26:27], v[44:45]
	v_pk_fma_f32 v[60:61], v[136:137], s[26:27], v[44:45] neg_lo:[1,0,0] neg_hi:[1,0,0]
	v_pk_mul_f32 v[46:47], v[160:161], s[64:65]
	v_pk_add_f32 v[26:27], v[24:25], v[26:27]
	v_mov_b32_e32 v60, v192
	v_pk_add_f32 v[26:27], v[60:61], v[26:27]
	v_pk_fma_f32 v[190:191], v[138:139], s[40:41], v[46:47]
	v_pk_fma_f32 v[60:61], v[138:139], s[40:41], v[46:47] neg_lo:[1,0,0] neg_hi:[1,0,0]
	v_pk_mul_f32 v[48:49], v[158:159], s[58:59]
	s_mov_b32 s59, 0x3f7ee86f
	v_mov_b32_e32 v60, v190
	v_pk_mul_f32 v[52:53], v[156:157], s[50:51]
	s_mov_b32 s68, s59
	s_mov_b32 s69, s55
	v_pk_add_f32 v[26:27], v[60:61], v[26:27]
	v_pk_fma_f32 v[180:181], v[140:141], s[20:21], v[48:49]
	v_pk_fma_f32 v[60:61], v[140:141], s[20:21], v[48:49] neg_lo:[1,0,0] neg_hi:[1,0,0]
	s_mov_b32 s58, s55
	v_pk_mul_f32 v[50:51], v[154:155], s[68:69]
	v_mov_b32_e32 v60, v180
	v_pk_fma_f32 v[178:179], v[142:143], s[18:19], v[52:53]
	v_pk_fma_f32 v[182:183], v[142:143], s[18:19], v[52:53] neg_lo:[1,0,0] neg_hi:[1,0,0]
	v_pk_add_f32 v[60:61], v[60:61], v[26:27]
	v_mov_b32_e32 v182, v178
	v_pk_fma_f32 v[176:177], v[144:145], s[58:59], v[50:51]
	v_pk_fma_f32 v[186:187], v[144:145], s[58:59], v[50:51] neg_lo:[1,0,0] neg_hi:[1,0,0]
	v_pk_mul_f32 v[54:55], v[152:153], s[46:47]
	v_pk_add_f32 v[182:183], v[182:183], v[60:61]
	v_mov_b32_e32 v186, v176
	v_pk_add_f32 v[186:187], v[186:187], v[182:183]
	v_pk_fma_f32 v[174:175], v[146:147], s[2:3], v[54:55]
	v_pk_fma_f32 v[182:183], v[146:147], s[2:3], v[54:55] neg_lo:[1,0,0] neg_hi:[1,0,0]
	v_pk_mul_f32 v[116:117], v[150:151], s[44:45]
	v_mov_b32_e32 v182, v174
	v_pk_add_f32 v[182:183], v[182:183], v[186:187]
	v_pk_fma_f32 v[60:61], v[148:149], s[14:15], v[116:117]
	v_pk_fma_f32 v[186:187], v[148:149], s[14:15], v[116:117] neg_lo:[1,0,0] neg_hi:[1,0,0]
	s_mov_b32 s72, s45
	v_mov_b32_e32 v186, v60
	v_pk_add_f32 v[182:183], v[186:187], v[182:183]
	ds_write2_b64 v59, v[78:79], v[182:183] offset0:4 offset1:5
	v_pk_mul_f32 v[78:79], v[166:167], s[44:45] op_sel_hi:[1,0]
	v_mov_b32_e32 v60, v220
	v_pk_fma_f32 v[182:183], v[164:165], s[72:73], v[78:79] op_sel:[0,0,1] op_sel_hi:[1,0,0]
	v_pk_fma_f32 v[78:79], v[164:165], s[72:73], v[78:79] op_sel:[0,0,1] op_sel_hi:[1,0,0] neg_lo:[0,0,1] neg_hi:[0,0,1]
	v_mov_b32_e32 v174, v221
	v_pk_mul_f32 v[220:221], v[162:163], s[66:67]
	v_mov_b32_e32 v186, v182
	v_mov_b32_e32 v187, v79
	v_pk_fma_f32 v[42:43], v[136:137], s[28:29], v[220:221]
	v_pk_fma_f32 v[26:27], v[136:137], s[28:29], v[220:221] neg_lo:[1,0,0] neg_hi:[1,0,0]
	v_pk_add_f32 v[186:187], v[24:25], v[186:187]
	v_mov_b32_e32 v26, v42
	v_pk_add_f32 v[26:27], v[26:27], v[186:187]
	v_pk_mul_f32 v[186:187], v[160:161], s[46:47]
	v_accvgpr_write_b32 a26, v224
	v_pk_fma_f32 v[40:41], v[138:139], s[2:3], v[186:187]
	v_accvgpr_write_b32 a27, v225
	v_pk_fma_f32 v[224:225], v[138:139], s[2:3], v[186:187] neg_lo:[1,0,0] neg_hi:[1,0,0]
	v_accvgpr_write_b32 a63, v35
	v_mov_b32_e32 v224, v40
	v_pk_add_f32 v[26:27], v[224:225], v[26:27]
	v_pk_mul_f32 v[224:225], v[158:159], s[48:49]
	v_accvgpr_write_b32 a62, v34
	v_pk_fma_f32 v[38:39], v[140:141], s[22:23], v[224:225]
	v_pk_fma_f32 v[246:247], v[140:141], s[22:23], v[224:225] neg_lo:[1,0,0] neg_hi:[1,0,0]
	v_mov_b32_e32 v176, v222
	v_mov_b32_e32 v246, v38
	v_pk_add_f32 v[26:27], v[246:247], v[26:27]
	v_pk_mul_f32 v[246:247], v[156:157], s[68:69]
	v_mov_b32_e32 v178, v223
	v_pk_fma_f32 v[36:37], v[142:143], s[58:59], v[246:247]
	v_pk_fma_f32 v[252:253], v[142:143], s[58:59], v[246:247] neg_lo:[1,0,0] neg_hi:[1,0,0]
	v_accvgpr_write_b32 a67, v33
	v_mov_b32_e32 v252, v36
	v_pk_add_f32 v[26:27], v[252:253], v[26:27]
	v_pk_mul_f32 v[252:253], v[154:155], s[52:53]
	v_accvgpr_write_b32 a93, v31
	v_pk_fma_f32 v[34:35], v[144:145], s[24:25], v[252:253]
	v_pk_fma_f32 v[222:223], v[144:145], s[24:25], v[252:253] neg_lo:[1,0,0] neg_hi:[1,0,0]
	s_mov_b32 s52, s49
	v_mov_b32_e32 v222, v34
	v_pk_add_f32 v[26:27], v[222:223], v[26:27]
	v_pk_mul_f32 v[222:223], v[152:153], s[50:51]
	v_pk_mul_f32 v[244:245], v[162:163], s[60:61]
	v_pk_fma_f32 v[32:33], v[146:147], s[18:19], v[222:223]
	v_pk_fma_f32 v[230:231], v[146:147], s[18:19], v[222:223] neg_lo:[1,0,0] neg_hi:[1,0,0]
	v_accvgpr_write_b32 a28, v104
	v_mov_b32_e32 v230, v32
	v_pk_add_f32 v[26:27], v[230:231], v[26:27]
	v_pk_mul_f32 v[230:231], v[150:151], s[60:61]
	v_accvgpr_write_b32 a32, v118
	v_pk_fma_f32 v[30:31], v[148:149], s[30:31], v[230:231]
	v_pk_fma_f32 v[56:57], v[148:149], s[30:31], v[230:231] neg_lo:[1,0,0] neg_hi:[1,0,0]
	v_accvgpr_write_b32 a29, v105
	v_mov_b32_e32 v56, v30
	v_pk_add_f32 v[26:27], v[56:57], v[26:27]
	v_pk_mul_f32 v[56:57], v[166:167], s[48:49] op_sel_hi:[1,0]
	v_mov_b32_e32 v30, v226
	v_pk_fma_f32 v[250:251], v[164:165], s[52:53], v[56:57] op_sel:[0,0,1] op_sel_hi:[1,0,0]
	v_pk_fma_f32 v[56:57], v[164:165], s[52:53], v[56:57] op_sel:[0,0,1] op_sel_hi:[1,0,0] neg_lo:[0,0,1] neg_hi:[0,0,1]
	v_mov_b32_e32 v104, v250
	v_mov_b32_e32 v105, v57
	;; [unrolled: 1-line block ×3, first 2 shown]
	v_pk_fma_f32 v[226:227], v[136:137], s[30:31], v[244:245]
	v_pk_fma_f32 v[254:255], v[136:137], s[30:31], v[244:245] neg_lo:[1,0,0] neg_hi:[1,0,0]
	v_accvgpr_write_b32 a33, v119
	v_pk_mul_f32 v[118:119], v[160:161], s[54:55]
	v_pk_add_f32 v[104:105], v[24:25], v[104:105]
	v_mov_b32_e32 v254, v226
	v_pk_add_f32 v[104:105], v[254:255], v[104:105]
	v_pk_fma_f32 v[232:233], v[138:139], s[10:11], v[118:119]
	v_pk_fma_f32 v[254:255], v[138:139], s[10:11], v[118:119] neg_lo:[1,0,0] neg_hi:[1,0,0]
	v_pk_mul_f32 v[234:235], v[158:159], s[70:71]
	v_mov_b32_e32 v254, v232
	v_mov_b32_e32 v226, v30
	v_pk_add_f32 v[104:105], v[254:255], v[104:105]
	v_mov_b32_e32 v30, v242
	v_pk_fma_f32 v[242:243], v[140:141], s[56:57], v[234:235]
	v_pk_fma_f32 v[254:255], v[140:141], s[56:57], v[234:235] neg_lo:[1,0,0] neg_hi:[1,0,0]
	v_pk_mul_f32 v[236:237], v[156:157], s[46:47]
	v_mov_b32_e32 v254, v242
	v_pk_add_f32 v[104:105], v[254:255], v[104:105]
	v_pk_fma_f32 v[62:63], v[142:143], s[2:3], v[236:237]
	v_pk_fma_f32 v[254:255], v[142:143], s[2:3], v[236:237] neg_lo:[1,0,0] neg_hi:[1,0,0]
	v_pk_mul_f32 v[238:239], v[154:155], s[50:51]
	v_mov_b32_e32 v254, v62
	v_pk_add_f32 v[104:105], v[254:255], v[104:105]
	;; [unrolled: 5-line block ×3, first 2 shown]
	v_pk_fma_f32 v[66:67], v[146:147], s[40:41], v[240:241]
	v_pk_fma_f32 v[254:255], v[146:147], s[40:41], v[240:241] neg_lo:[1,0,0] neg_hi:[1,0,0]
	v_mov_b32_e32 v36, v228
	v_pk_mul_f32 v[228:229], v[150:151], s[38:39]
	v_mov_b32_e32 v254, v66
	v_accvgpr_write_b32 a0, v68
	v_pk_add_f32 v[104:105], v[254:255], v[104:105]
	v_accvgpr_write_b32 a1, v69
	v_pk_fma_f32 v[68:69], v[148:149], s[34:35], v[228:229]
	v_pk_fma_f32 v[254:255], v[148:149], s[34:35], v[228:229] neg_lo:[1,0,0] neg_hi:[1,0,0]
	s_mov_b32 s46, s51
	v_mov_b32_e32 v254, v68
	v_pk_add_f32 v[104:105], v[254:255], v[104:105]
	ds_write2_b64 v59, v[26:27], v[104:105] offset0:6 offset1:7
	v_pk_mul_f32 v[26:27], v[166:167], s[50:51] op_sel_hi:[1,0]
	v_pk_mul_f32 v[162:163], v[162:163], s[62:63]
	v_pk_fma_f32 v[104:105], v[164:165], s[46:47], v[26:27] op_sel:[0,0,1] op_sel_hi:[1,0,0]
	v_pk_fma_f32 v[26:27], v[164:165], s[46:47], v[26:27] op_sel:[0,0,1] op_sel_hi:[1,0,0] neg_lo:[0,0,1] neg_hi:[0,0,1]
	v_mov_b32_e32 v164, v104
	v_mov_b32_e32 v165, v27
	v_pk_fma_f32 v[166:167], v[136:137], s[36:37], v[162:163]
	v_pk_fma_f32 v[254:255], v[136:137], s[36:37], v[162:163] neg_lo:[1,0,0] neg_hi:[1,0,0]
	v_pk_add_f32 v[164:165], v[24:25], v[164:165]
	v_mov_b32_e32 v254, v166
	v_pk_mul_f32 v[160:161], v[160:161], s[48:49]
	v_accvgpr_write_b32 a2, v70
	v_pk_add_f32 v[164:165], v[254:255], v[164:165]
	v_accvgpr_write_b32 a3, v71
	v_pk_fma_f32 v[70:71], v[138:139], s[22:23], v[160:161]
	v_pk_fma_f32 v[254:255], v[138:139], s[22:23], v[160:161] neg_lo:[1,0,0] neg_hi:[1,0,0]
	v_pk_mul_f32 v[158:159], v[158:159], s[64:65]
	v_mov_b32_e32 v254, v70
	v_accvgpr_write_b32 a4, v72
	v_pk_add_f32 v[164:165], v[254:255], v[164:165]
	v_accvgpr_write_b32 a5, v73
	v_pk_fma_f32 v[72:73], v[140:141], s[40:41], v[158:159]
	v_pk_fma_f32 v[254:255], v[140:141], s[40:41], v[158:159] neg_lo:[1,0,0] neg_hi:[1,0,0]
	v_pk_mul_f32 v[156:157], v[156:157], s[44:45]
	v_mov_b32_e32 v254, v72
	;; [unrolled: 7-line block ×5, first 2 shown]
	v_pk_add_f32 v[164:165], v[254:255], v[164:165]
	v_mov_b32_e32 v27, v82
	v_mov_b32_e32 v32, v83
	v_pk_fma_f32 v[82:83], v[148:149], s[58:59], v[150:151]
	v_pk_fma_f32 v[254:255], v[148:149], s[58:59], v[150:151] neg_lo:[1,0,0] neg_hi:[1,0,0]
	v_mov_b32_e32 v57, v251
	v_mov_b32_e32 v254, v82
	;; [unrolled: 1-line block ×4, first 2 shown]
	v_pk_fma_f32 v[104:105], v[136:137], s[36:37], v[162:163] neg_lo:[0,0,1] neg_hi:[0,0,1]
	v_pk_add_f32 v[26:27], v[24:25], v[26:27]
	v_mov_b32_e32 v105, v167
	v_pk_add_f32 v[26:27], v[104:105], v[26:27]
	v_pk_fma_f32 v[104:105], v[138:139], s[22:23], v[160:161] neg_lo:[0,0,1] neg_hi:[0,0,1]
	v_pk_add_f32 v[164:165], v[254:255], v[164:165]
	v_mov_b32_e32 v105, v71
	v_pk_fma_f32 v[70:71], v[140:141], s[40:41], v[158:159] neg_lo:[0,0,1] neg_hi:[0,0,1]
	v_pk_add_f32 v[26:27], v[104:105], v[26:27]
	v_mov_b32_e32 v71, v73
	v_pk_add_f32 v[26:27], v[70:71], v[26:27]
	v_pk_fma_f32 v[70:71], v[142:143], s[14:15], v[156:157] neg_lo:[0,0,1] neg_hi:[0,0,1]
	v_mov_b32_e32 v79, v183
	v_mov_b32_e32 v71, v75
	v_pk_add_f32 v[26:27], v[70:71], v[26:27]
	v_pk_fma_f32 v[70:71], v[144:145], s[30:31], v[154:155] neg_lo:[0,0,1] neg_hi:[0,0,1]
	v_mov_b32_e32 v242, v30
	;; [unrolled: 4-line block ×4, first 2 shown]
	v_mov_b32_e32 v71, v83
	v_pk_add_f32 v[26:27], v[70:71], v[26:27]
	ds_write2_b64 v59, v[164:165], v[26:27] offset0:8 offset1:9
	v_pk_add_f32 v[26:27], v[24:25], v[56:57]
	v_pk_fma_f32 v[56:57], v[136:137], s[30:31], v[244:245] neg_lo:[0,0,1] neg_hi:[0,0,1]
	v_mov_b32_e32 v83, v32
	v_mov_b32_e32 v57, v227
	v_pk_add_f32 v[26:27], v[56:57], v[26:27]
	v_pk_fma_f32 v[56:57], v[138:139], s[10:11], v[118:119] neg_lo:[0,0,1] neg_hi:[0,0,1]
	v_mov_b32_e32 v227, v34
	v_mov_b32_e32 v57, v233
	v_pk_add_f32 v[26:27], v[56:57], v[26:27]
	v_pk_fma_f32 v[56:57], v[140:141], s[56:57], v[234:235] neg_lo:[0,0,1] neg_hi:[0,0,1]
	v_accvgpr_read_b32 v185, a65
	v_mov_b32_e32 v57, v243
	v_pk_add_f32 v[26:27], v[56:57], v[26:27]
	v_pk_fma_f32 v[56:57], v[142:143], s[2:3], v[236:237] neg_lo:[0,0,1] neg_hi:[0,0,1]
	v_accvgpr_read_b32 v105, a29
	v_mov_b32_e32 v57, v63
	v_pk_add_f32 v[26:27], v[56:57], v[26:27]
	v_pk_fma_f32 v[56:57], v[144:145], s[18:19], v[238:239] neg_lo:[0,0,1] neg_hi:[0,0,1]
	v_pk_fma_f32 v[62:63], v[136:137], s[28:29], v[220:221] neg_lo:[0,0,1] neg_hi:[0,0,1]
	v_mov_b32_e32 v57, v65
	v_pk_add_f32 v[26:27], v[56:57], v[26:27]
	v_pk_fma_f32 v[56:57], v[146:147], s[40:41], v[240:241] neg_lo:[0,0,1] neg_hi:[0,0,1]
	v_mov_b32_e32 v63, v43
	v_mov_b32_e32 v57, v67
	v_pk_add_f32 v[26:27], v[56:57], v[26:27]
	v_pk_fma_f32 v[56:57], v[148:149], s[34:35], v[228:229] neg_lo:[0,0,1] neg_hi:[0,0,1]
	v_mov_b32_e32 v228, v36
	v_mov_b32_e32 v57, v69
	v_pk_add_f32 v[26:27], v[56:57], v[26:27]
	v_pk_add_f32 v[56:57], v[24:25], v[78:79]
	v_accvgpr_read_b32 v73, a5
	v_pk_add_f32 v[42:43], v[62:63], v[56:57]
	v_pk_fma_f32 v[56:57], v[138:139], s[2:3], v[186:187] neg_lo:[0,0,1] neg_hi:[0,0,1]
	v_accvgpr_read_b32 v75, a7
	v_mov_b32_e32 v57, v41
	v_pk_add_f32 v[40:41], v[56:57], v[42:43]
	v_pk_fma_f32 v[42:43], v[140:141], s[22:23], v[224:225] neg_lo:[0,0,1] neg_hi:[0,0,1]
	v_accvgpr_read_b32 v77, a9
	v_mov_b32_e32 v43, v39
	;; [unrolled: 4-line block ×6, first 2 shown]
	v_pk_add_f32 v[30:31], v[34:35], v[32:33]
	ds_write2_b64 v59, v[26:27], v[30:31] offset0:10 offset1:11
	v_pk_fma_f32 v[30:31], v[136:137], s[26:27], v[44:45] neg_lo:[0,0,1] neg_hi:[0,0,1]
	v_pk_add_f32 v[26:27], v[24:25], v[248:249]
	v_mov_b32_e32 v31, v193
	v_pk_add_f32 v[26:27], v[30:31], v[26:27]
	v_pk_fma_f32 v[30:31], v[138:139], s[40:41], v[46:47] neg_lo:[0,0,1] neg_hi:[0,0,1]
	v_pk_fma_f32 v[32:33], v[136:137], s[18:19], v[206:207] neg_lo:[0,0,1] neg_hi:[0,0,1]
	v_mov_b32_e32 v31, v191
	v_pk_add_f32 v[26:27], v[30:31], v[26:27]
	v_pk_fma_f32 v[30:31], v[140:141], s[20:21], v[48:49] neg_lo:[0,0,1] neg_hi:[0,0,1]
	v_accvgpr_read_b32 v33, a81
	v_mov_b32_e32 v31, v181
	v_pk_add_f32 v[26:27], v[30:31], v[26:27]
	v_pk_fma_f32 v[30:31], v[142:143], s[18:19], v[52:53] neg_lo:[0,0,1] neg_hi:[0,0,1]
	v_accvgpr_read_b32 v79, a23
	;; [unrolled: 4-line block ×5, first 2 shown]
	v_mov_b32_e32 v31, v61
	v_pk_add_f32 v[26:27], v[30:31], v[26:27]
	v_pk_add_f32 v[30:31], v[24:25], v[202:203]
	v_mov_b32_e32 v203, v29
	v_pk_add_f32 v[30:31], v[32:33], v[30:31]
	v_pk_fma_f32 v[32:33], v[138:139], s[28:29], v[210:211] neg_lo:[0,0,1] neg_hi:[0,0,1]
	v_accvgpr_read_b32 v29, a35
	v_accvgpr_read_b32 v33, a83
	v_pk_add_f32 v[30:31], v[32:33], v[30:31]
	v_pk_fma_f32 v[32:33], v[140:141], s[36:37], v[214:215] neg_lo:[0,0,1] neg_hi:[0,0,1]
	v_accvgpr_read_b32 v211, a15
	v_accvgpr_read_b32 v33, a85
	;; [unrolled: 4-line block ×6, first 2 shown]
	v_pk_add_f32 v[30:31], v[32:33], v[30:31]
	ds_write2_b64 v59, v[26:27], v[30:31] offset0:12 offset1:13
	v_pk_add_f32 v[26:27], v[24:25], v[184:185]
	v_pk_add_f32 v[24:25], v[24:25], v[28:29]
	v_accvgpr_read_b32 v28, a40
	v_accvgpr_read_b32 v29, a41
	v_pk_fma_f32 v[28:29], v[136:137], s[10:11], v[28:29] neg_lo:[0,0,1] neg_hi:[0,0,1]
	v_pk_fma_f32 v[30:31], v[136:137], s[14:15], v[200:201] neg_lo:[0,0,1] neg_hi:[0,0,1]
	v_accvgpr_read_b32 v29, a37
	v_pk_add_f32 v[24:25], v[28:29], v[24:25]
	v_accvgpr_read_b32 v28, a44
	v_accvgpr_read_b32 v29, a45
	v_pk_fma_f32 v[28:29], v[138:139], s[14:15], v[28:29] neg_lo:[0,0,1] neg_hi:[0,0,1]
	v_accvgpr_read_b32 v31, a67
	v_accvgpr_read_b32 v29, a39
	v_pk_add_f32 v[24:25], v[28:29], v[24:25]
	v_accvgpr_read_b32 v28, a46
	v_accvgpr_read_b32 v29, a47
	v_pk_fma_f32 v[28:29], v[140:141], s[18:19], v[28:29] neg_lo:[0,0,1] neg_hi:[0,0,1]
	v_pk_add_f32 v[26:27], v[30:31], v[26:27]
	v_accvgpr_read_b32 v29, a43
	v_pk_add_f32 v[24:25], v[28:29], v[24:25]
	v_accvgpr_read_b32 v28, a50
	v_accvgpr_read_b32 v29, a51
	v_pk_fma_f32 v[28:29], v[142:143], s[26:27], v[28:29] neg_lo:[0,0,1] neg_hi:[0,0,1]
	v_pk_fma_f32 v[30:31], v[138:139], s[42:43], v[196:197] neg_lo:[0,0,1] neg_hi:[0,0,1]
	v_accvgpr_read_b32 v29, a49
	v_pk_add_f32 v[24:25], v[28:29], v[24:25]
	v_accvgpr_read_b32 v28, a54
	v_accvgpr_read_b32 v31, a69
	;; [unrolled: 1-line block ×3, first 2 shown]
	v_pk_add_f32 v[26:27], v[30:31], v[26:27]
	v_pk_fma_f32 v[30:31], v[140:141], s[28:29], v[204:205] neg_lo:[0,0,1] neg_hi:[0,0,1]
	v_pk_fma_f32 v[28:29], v[144:145], s[28:29], v[28:29] neg_lo:[0,0,1] neg_hi:[0,0,1]
	v_accvgpr_read_b32 v31, a71
	v_accvgpr_read_b32 v29, a53
	v_pk_add_f32 v[26:27], v[30:31], v[26:27]
	v_pk_fma_f32 v[30:31], v[142:143], s[40:41], v[198:199] neg_lo:[0,0,1] neg_hi:[0,0,1]
	v_pk_add_f32 v[24:25], v[28:29], v[24:25]
	v_accvgpr_read_b32 v28, a58
	v_accvgpr_read_b32 v31, a73
	;; [unrolled: 1-line block ×3, first 2 shown]
	v_pk_add_f32 v[26:27], v[30:31], v[26:27]
	v_pk_fma_f32 v[30:31], v[144:145], s[2:3], v[208:209] neg_lo:[0,0,1] neg_hi:[0,0,1]
	v_pk_fma_f32 v[28:29], v[146:147], s[30:31], v[28:29] neg_lo:[0,0,1] neg_hi:[0,0,1]
	v_accvgpr_read_b32 v31, a75
	v_accvgpr_read_b32 v29, a57
	v_pk_add_f32 v[26:27], v[30:31], v[26:27]
	v_pk_fma_f32 v[30:31], v[146:147], s[10:11], v[212:213] neg_lo:[0,0,1] neg_hi:[0,0,1]
	v_pk_add_f32 v[24:25], v[28:29], v[24:25]
	v_accvgpr_read_b32 v28, a62
	v_accvgpr_read_b32 v31, a77
	;; [unrolled: 1-line block ×3, first 2 shown]
	v_pk_add_f32 v[26:27], v[30:31], v[26:27]
	v_pk_fma_f32 v[30:31], v[148:149], s[22:23], v[216:217] neg_lo:[0,0,1] neg_hi:[0,0,1]
	v_pk_fma_f32 v[28:29], v[148:149], s[36:37], v[28:29] neg_lo:[0,0,1] neg_hi:[0,0,1]
	v_accvgpr_read_b32 v209, a13
	v_accvgpr_read_b32 v31, a79
	;; [unrolled: 1-line block ×7, first 2 shown]
	v_mov_b32_e32 v221, v174
	v_mov_b32_e32 v220, v60
	v_accvgpr_read_b32 v224, a26
	v_mov_b32_e32 v223, v178
	v_mov_b32_e32 v222, v176
	v_accvgpr_read_b32 v206, a10
	v_accvgpr_read_b32 v210, a14
	;; [unrolled: 1-line block ×11, first 2 shown]
	v_pk_add_f32 v[26:27], v[30:31], v[26:27]
	v_pk_add_f32 v[24:25], v[28:29], v[24:25]
	ds_write2_b64 v59, v[26:27], v[24:25] offset0:14 offset1:15
	ds_write_b64 v59, a[32:33] offset:128
.LBB0_17:
	s_or_b64 exec, exec, s[16:17]
	v_add_u32_e32 v59, 0x1000, v189
	s_waitcnt lgkmcnt(0)
	; wave barrier
	s_waitcnt lgkmcnt(0)
	ds_read2_b64 v[24:27], v59 offset0:202 offset1:253
	v_mov_b32_e32 v138, v12
	v_mov_b32_e32 v139, v12
	v_add_u32_e32 v12, 0x800, v189
	ds_read2_b64 v[28:31], v12 offset0:50 offset1:101
	s_waitcnt lgkmcnt(1)
	v_pk_mul_f32 v[32:33], v[210:211], v[26:27]
	v_mov_b32_e32 v150, v4
	v_pk_fma_f32 v[34:35], v[134:135], v[26:27], v[32:33] op_sel:[0,0,1] op_sel_hi:[1,1,0]
	v_pk_fma_f32 v[26:27], v[134:135], v[26:27], v[32:33] op_sel:[0,0,1] op_sel_hi:[1,1,0] neg_lo:[0,0,1] neg_hi:[0,0,1]
	v_mov_b32_e32 v151, v4
	v_mov_b32_e32 v35, v27
	s_waitcnt lgkmcnt(0)
	v_pk_add_f32 v[116:117], v[30:31], v[34:35] neg_lo:[0,1] neg_hi:[0,1]
	ds_read2_b64 v[32:35], v59 offset0:100 offset1:151
	v_pk_mul_f32 v[26:27], v[208:209], v[24:25]
	v_mov_b32_e32 v4, v5
	v_pk_fma_f32 v[36:37], v[132:133], v[24:25], v[26:27] op_sel:[0,0,1] op_sel_hi:[1,1,0]
	v_pk_fma_f32 v[24:25], v[132:133], v[24:25], v[26:27] op_sel:[0,0,1] op_sel_hi:[1,1,0] neg_lo:[0,0,1] neg_hi:[0,0,1]
	v_mov_b32_e32 v148, v6
	v_mov_b32_e32 v37, v25
	ds_read2_b64 v[24:27], v189 offset0:204 offset1:255
	v_pk_add_f32 v[40:41], v[28:29], v[36:37] neg_lo:[0,1] neg_hi:[0,1]
	s_waitcnt lgkmcnt(1)
	v_pk_mul_f32 v[36:37], v[76:77], v[34:35]
	v_mov_b32_e32 v149, v6
	v_pk_fma_f32 v[38:39], v[130:131], v[34:35], v[36:37] op_sel:[0,0,1] op_sel_hi:[1,1,0]
	v_pk_fma_f32 v[34:35], v[130:131], v[34:35], v[36:37] op_sel:[0,0,1] op_sel_hi:[1,1,0] neg_lo:[0,0,1] neg_hi:[0,0,1]
	v_mov_b32_e32 v6, v7
	v_mov_b32_e32 v39, v35
	v_pk_mul_f32 v[34:35], v[206:207], v[32:33]
	s_waitcnt lgkmcnt(0)
	v_pk_add_f32 v[42:43], v[26:27], v[38:39] neg_lo:[0,1] neg_hi:[0,1]
	v_pk_fma_f32 v[36:37], v[128:129], v[32:33], v[34:35] op_sel:[0,0,1] op_sel_hi:[1,1,0]
	v_pk_fma_f32 v[38:39], v[128:129], v[32:33], v[34:35] op_sel:[0,0,1] op_sel_hi:[1,1,0] neg_lo:[0,0,1] neg_hi:[0,0,1]
	v_add_u32_e32 v32, 0xc00, v189
	ds_read2_b64 v[32:35], v32 offset0:126 offset1:177
	v_mov_b32_e32 v37, v39
	v_pk_add_f32 v[44:45], v[24:25], v[36:37] neg_lo:[0,1] neg_hi:[0,1]
	ds_read2_b64 v[36:39], v189 offset0:102 offset1:153
	v_pk_fma_f32 v[24:25], v[24:25], 2.0, v[44:45] op_sel_hi:[1,0,1] neg_lo:[0,0,1] neg_hi:[0,0,1]
	s_waitcnt lgkmcnt(1)
	v_pk_mul_f32 v[46:47], v[74:75], v[34:35]
	v_mov_b32_e32 v146, v8
	v_pk_fma_f32 v[48:49], v[126:127], v[34:35], v[46:47] op_sel:[0,0,1] op_sel_hi:[1,1,0]
	v_pk_fma_f32 v[34:35], v[126:127], v[34:35], v[46:47] op_sel:[0,0,1] op_sel_hi:[1,1,0] neg_lo:[0,0,1] neg_hi:[0,0,1]
	v_mov_b32_e32 v147, v8
	v_mov_b32_e32 v49, v35
	s_waitcnt lgkmcnt(0)
	v_pk_add_f32 v[46:47], v[38:39], v[48:49] neg_lo:[0,1] neg_hi:[0,1]
	v_pk_mul_f32 v[34:35], v[72:73], v[32:33]
	v_pk_fma_f32 v[48:49], v[38:39], 2.0, v[46:47] op_sel_hi:[1,0,1] neg_lo:[0,0,1] neg_hi:[0,0,1]
	v_pk_fma_f32 v[38:39], v[124:125], v[32:33], v[34:35] op_sel:[0,0,1] op_sel_hi:[1,1,0]
	v_pk_fma_f32 v[50:51], v[124:125], v[32:33], v[34:35] op_sel:[0,0,1] op_sel_hi:[1,1,0] neg_lo:[0,0,1] neg_hi:[0,0,1]
	ds_read2_b64 v[32:35], v12 offset0:152 offset1:203
	v_mov_b32_e32 v39, v51
	v_pk_add_f32 v[50:51], v[36:37], v[38:39] neg_lo:[0,1] neg_hi:[0,1]
	v_mov_b32_e32 v8, v9
	v_pk_fma_f32 v[52:53], v[36:37], 2.0, v[50:51] op_sel_hi:[1,0,1] neg_lo:[0,0,1] neg_hi:[0,0,1]
	ds_read2_b64 v[36:39], v189 offset1:51
	s_waitcnt lgkmcnt(1)
	v_pk_mul_f32 v[54:55], v[70:71], v[34:35]
	s_waitcnt lgkmcnt(0)
	v_pk_fma_f32 v[56:57], v[122:123], v[34:35], v[54:55] op_sel:[0,0,1] op_sel_hi:[1,1,0]
	v_pk_fma_f32 v[34:35], v[122:123], v[34:35], v[54:55] op_sel:[0,0,1] op_sel_hi:[1,1,0] neg_lo:[0,0,1] neg_hi:[0,0,1]
	v_pk_mul_f32 v[54:55], v[68:69], v[32:33]
	v_mov_b32_e32 v57, v35
	v_pk_add_f32 v[34:35], v[38:39], v[56:57] neg_lo:[0,1] neg_hi:[0,1]
	v_pk_fma_f32 v[56:57], v[120:121], v[32:33], v[54:55] op_sel:[0,0,1] op_sel_hi:[1,1,0]
	v_pk_fma_f32 v[32:33], v[120:121], v[32:33], v[54:55] op_sel:[0,0,1] op_sel_hi:[1,1,0] neg_lo:[0,0,1] neg_hi:[0,0,1]
	v_pk_fma_f32 v[38:39], v[38:39], 2.0, v[34:35] op_sel_hi:[1,0,1] neg_lo:[0,0,1] neg_hi:[0,0,1]
	v_mov_b32_e32 v57, v33
	v_pk_add_f32 v[32:33], v[36:37], v[56:57] neg_lo:[0,1] neg_hi:[0,1]
	; wave barrier
	s_nop 0
	v_pk_fma_f32 v[36:37], v[36:37], 2.0, v[32:33] op_sel_hi:[1,0,1] neg_lo:[0,0,1] neg_hi:[0,0,1]
	ds_write2_b64 v213, v[36:37], v[32:33] offset1:17
	ds_write2_b64 v214, v[38:39], v[34:35] offset1:17
	;; [unrolled: 1-line block ×5, first 2 shown]
	v_pk_fma_f32 v[24:25], v[26:27], 2.0, v[42:43] op_sel_hi:[1,0,1] neg_lo:[0,0,1] neg_hi:[0,0,1]
	ds_write2_b64 v212, v[24:25], v[42:43] offset1:17
	v_pk_fma_f32 v[24:25], v[28:29], 2.0, v[40:41] op_sel_hi:[1,0,1] neg_lo:[0,0,1] neg_hi:[0,0,1]
	ds_write2_b64 v203, v[24:25], v[40:41] offset1:17
	;; [unrolled: 2-line block ×3, first 2 shown]
	v_add_u32_e32 v24, 0x400, v189
	s_waitcnt lgkmcnt(0)
	; wave barrier
	s_waitcnt lgkmcnt(0)
	ds_read2_b64 v[44:47], v189 offset1:51
	ds_read2_b64 v[24:27], v24 offset0:76 offset1:144
	ds_read2_b64 v[48:51], v59 offset0:32 offset1:83
	;; [unrolled: 1-line block ×6, first 2 shown]
	ds_read_b64 v[132:133], v189 offset:5984
	v_mov_b32_e32 v144, v10
	v_mov_b32_e32 v145, v10
	;; [unrolled: 1-line block ×19, first 2 shown]
	s_and_saveexec_b64 s[2:3], s[0:1]
	s_cbranch_execz .LBB0_19
; %bb.18:
	ds_read_b64 v[116:117], v189 offset:2040
	ds_read_b64 v[118:119], v189 offset:4216
	;; [unrolled: 1-line block ×3, first 2 shown]
.LBB0_19:
	s_or_b64 exec, exec, s[2:3]
	s_waitcnt lgkmcnt(6)
	v_pk_mul_f32 v[4:5], v[4:5], v[26:27]
	s_waitcnt lgkmcnt(5)
	v_pk_mul_f32 v[6:7], v[6:7], v[48:49]
	v_pk_fma_f32 v[56:57], v[150:151], v[26:27], v[4:5] op_sel:[0,0,1] op_sel_hi:[1,1,0]
	v_pk_fma_f32 v[4:5], v[150:151], v[26:27], v[4:5] op_sel:[0,0,1] op_sel_hi:[1,1,0] neg_lo:[0,0,1] neg_hi:[0,0,1]
	s_mov_b32 s2, 0x3f5db3d7
	v_mov_b32_e32 v57, v5
	v_pk_fma_f32 v[4:5], v[148:149], v[48:49], v[6:7] op_sel:[0,0,1] op_sel_hi:[1,1,0]
	v_pk_fma_f32 v[6:7], v[148:149], v[48:49], v[6:7] op_sel:[0,0,1] op_sel_hi:[1,1,0] neg_lo:[0,0,1] neg_hi:[0,0,1]
	s_waitcnt lgkmcnt(4)
	v_pk_mul_f32 v[8:9], v[8:9], v[40:41]
	v_mov_b32_e32 v5, v7
	v_pk_add_f32 v[6:7], v[44:45], v[56:57]
	v_pk_add_f32 v[26:27], v[56:57], v[4:5]
	;; [unrolled: 1-line block ×3, first 2 shown]
	v_pk_add_f32 v[4:5], v[56:57], v[4:5] neg_lo:[0,1] neg_hi:[0,1]
	v_pk_fma_f32 v[26:27], v[26:27], 0.5, v[44:45] op_sel_hi:[1,0,1] neg_lo:[1,0,0] neg_hi:[1,0,0]
	v_pk_mul_f32 v[4:5], v[4:5], s[2:3] op_sel_hi:[1,0]
	v_pk_mul_f32 v[10:11], v[10:11], v[50:51]
	v_pk_add_f32 v[44:45], v[26:27], v[4:5] op_sel:[0,1] op_sel_hi:[1,0] neg_lo:[0,1] neg_hi:[0,1]
	v_pk_add_f32 v[4:5], v[26:27], v[4:5] op_sel:[0,1] op_sel_hi:[1,0]
	v_mov_b32_e32 v26, v44
	v_mov_b32_e32 v27, v5
	;; [unrolled: 1-line block ×3, first 2 shown]
	s_waitcnt lgkmcnt(0)
	; wave barrier
	s_waitcnt lgkmcnt(0)
	ds_write2_b64 v220, v[6:7], v[26:27] offset1:34
	ds_write_b64 v220, v[4:5] offset:544
	v_pk_fma_f32 v[4:5], v[146:147], v[40:41], v[8:9] op_sel:[0,0,1] op_sel_hi:[1,1,0]
	v_pk_fma_f32 v[6:7], v[146:147], v[40:41], v[8:9] op_sel:[0,0,1] op_sel_hi:[1,1,0] neg_lo:[0,0,1] neg_hi:[0,0,1]
	v_pk_fma_f32 v[8:9], v[144:145], v[50:51], v[10:11] op_sel:[0,0,1] op_sel_hi:[1,1,0] neg_lo:[0,0,1] neg_hi:[0,0,1]
	v_mov_b32_e32 v5, v7
	v_pk_fma_f32 v[6:7], v[144:145], v[50:51], v[10:11] op_sel:[0,0,1] op_sel_hi:[1,1,0]
	v_pk_mul_f32 v[16:17], v[16:17], v[42:43]
	v_mov_b32_e32 v7, v9
	v_pk_add_f32 v[8:9], v[46:47], v[4:5]
	v_pk_add_f32 v[10:11], v[4:5], v[6:7]
	v_pk_add_f32 v[4:5], v[4:5], v[6:7] neg_lo:[0,1] neg_hi:[0,1]
	v_pk_fma_f32 v[10:11], v[10:11], 0.5, v[46:47] op_sel_hi:[1,0,1] neg_lo:[1,0,0] neg_hi:[1,0,0]
	v_pk_mul_f32 v[4:5], v[4:5], s[2:3] op_sel_hi:[1,0]
	v_pk_add_f32 v[8:9], v[8:9], v[6:7]
	v_pk_add_f32 v[6:7], v[10:11], v[4:5] op_sel:[0,1] op_sel_hi:[1,0] neg_lo:[0,1] neg_hi:[0,1]
	v_pk_add_f32 v[4:5], v[10:11], v[4:5] op_sel:[0,1] op_sel_hi:[1,0]
	v_pk_mul_f32 v[18:19], v[18:19], v[36:37]
	v_mov_b32_e32 v11, v5
	v_mov_b32_e32 v5, v7
	v_mov_b32_e32 v10, v6
	ds_write_b64 v219, v[4:5] offset:544
	v_pk_fma_f32 v[4:5], v[142:143], v[42:43], v[16:17] op_sel:[0,0,1] op_sel_hi:[1,1,0]
	v_pk_fma_f32 v[6:7], v[142:143], v[42:43], v[16:17] op_sel:[0,0,1] op_sel_hi:[1,1,0] neg_lo:[0,0,1] neg_hi:[0,0,1]
	ds_write2_b64 v219, v[8:9], v[10:11] offset1:34
	v_mov_b32_e32 v5, v7
	v_pk_fma_f32 v[6:7], v[140:141], v[36:37], v[18:19] op_sel:[0,0,1] op_sel_hi:[1,1,0]
	v_pk_fma_f32 v[8:9], v[140:141], v[36:37], v[18:19] op_sel:[0,0,1] op_sel_hi:[1,1,0] neg_lo:[0,0,1] neg_hi:[0,0,1]
	v_pk_mul_f32 v[20:21], v[20:21], v[28:29]
	v_mov_b32_e32 v7, v9
	v_pk_add_f32 v[8:9], v[32:33], v[4:5]
	v_pk_add_f32 v[10:11], v[4:5], v[6:7]
	v_pk_add_f32 v[4:5], v[4:5], v[6:7] neg_lo:[0,1] neg_hi:[0,1]
	v_pk_fma_f32 v[10:11], v[10:11], 0.5, v[32:33] op_sel_hi:[1,0,1] neg_lo:[1,0,0] neg_hi:[1,0,0]
	v_pk_mul_f32 v[4:5], v[4:5], s[2:3] op_sel_hi:[1,0]
	v_pk_add_f32 v[8:9], v[8:9], v[6:7]
	v_pk_add_f32 v[6:7], v[10:11], v[4:5] op_sel:[0,1] op_sel_hi:[1,0] neg_lo:[0,1] neg_hi:[0,1]
	v_pk_add_f32 v[4:5], v[10:11], v[4:5] op_sel:[0,1] op_sel_hi:[1,0]
	v_pk_mul_f32 v[22:23], v[22:23], v[38:39]
	v_mov_b32_e32 v11, v5
	v_mov_b32_e32 v5, v7
	v_mov_b32_e32 v10, v6
	ds_write_b64 v223, v[4:5] offset:544
	v_pk_fma_f32 v[4:5], v[136:137], v[28:29], v[20:21] op_sel:[0,0,1] op_sel_hi:[1,1,0]
	v_pk_fma_f32 v[6:7], v[136:137], v[28:29], v[20:21] op_sel:[0,0,1] op_sel_hi:[1,1,0] neg_lo:[0,0,1] neg_hi:[0,0,1]
	ds_write2_b64 v223, v[8:9], v[10:11] offset1:34
	v_mov_b32_e32 v5, v7
	v_pk_fma_f32 v[6:7], v[60:61], v[38:39], v[22:23] op_sel:[0,0,1] op_sel_hi:[1,1,0]
	v_pk_fma_f32 v[8:9], v[60:61], v[38:39], v[22:23] op_sel:[0,0,1] op_sel_hi:[1,1,0] neg_lo:[0,0,1] neg_hi:[0,0,1]
	v_pk_mul_f32 v[12:13], v[12:13], v[30:31]
	v_mov_b32_e32 v7, v9
	v_pk_add_f32 v[8:9], v[34:35], v[4:5]
	v_pk_add_f32 v[10:11], v[4:5], v[6:7]
	v_pk_add_f32 v[4:5], v[4:5], v[6:7] neg_lo:[0,1] neg_hi:[0,1]
	v_pk_fma_f32 v[10:11], v[10:11], 0.5, v[34:35] op_sel_hi:[1,0,1] neg_lo:[1,0,0] neg_hi:[1,0,0]
	v_pk_mul_f32 v[4:5], v[4:5], s[2:3] op_sel_hi:[1,0]
	v_pk_add_f32 v[8:9], v[8:9], v[6:7]
	v_pk_add_f32 v[6:7], v[10:11], v[4:5] op_sel:[0,1] op_sel_hi:[1,0] neg_lo:[0,1] neg_hi:[0,1]
	v_pk_add_f32 v[4:5], v[10:11], v[4:5] op_sel:[0,1] op_sel_hi:[1,0]
	v_pk_mul_f32 v[14:15], v[14:15], v[132:133]
	v_mov_b32_e32 v11, v5
	v_mov_b32_e32 v5, v7
	v_mov_b32_e32 v10, v6
	ds_write_b64 v227, v[4:5] offset:544
	v_pk_fma_f32 v[4:5], v[138:139], v[30:31], v[12:13] op_sel:[0,0,1] op_sel_hi:[1,1,0]
	v_pk_fma_f32 v[6:7], v[138:139], v[30:31], v[12:13] op_sel:[0,0,1] op_sel_hi:[1,1,0] neg_lo:[0,0,1] neg_hi:[0,0,1]
	ds_write2_b64 v227, v[8:9], v[10:11] offset1:34
	v_mov_b32_e32 v5, v7
	v_pk_fma_f32 v[6:7], v[134:135], v[132:133], v[14:15] op_sel:[0,0,1] op_sel_hi:[1,1,0]
	v_pk_fma_f32 v[8:9], v[134:135], v[132:133], v[14:15] op_sel:[0,0,1] op_sel_hi:[1,1,0] neg_lo:[0,0,1] neg_hi:[0,0,1]
	v_mov_b32_e32 v130, v86
	v_mov_b32_e32 v7, v9
	v_pk_add_f32 v[8:9], v[24:25], v[4:5]
	v_pk_add_f32 v[10:11], v[4:5], v[6:7]
	v_pk_add_f32 v[4:5], v[4:5], v[6:7] neg_lo:[0,1] neg_hi:[0,1]
	v_pk_fma_f32 v[10:11], v[10:11], 0.5, v[24:25] op_sel_hi:[1,0,1] neg_lo:[1,0,0] neg_hi:[1,0,0]
	v_pk_mul_f32 v[4:5], v[4:5], s[2:3] op_sel_hi:[1,0]
	v_pk_add_f32 v[8:9], v[8:9], v[6:7]
	v_pk_add_f32 v[6:7], v[10:11], v[4:5] op_sel:[0,1] op_sel_hi:[1,0] neg_lo:[0,1] neg_hi:[0,1]
	v_pk_add_f32 v[4:5], v[10:11], v[4:5] op_sel:[0,1] op_sel_hi:[1,0]
	v_mov_b32_e32 v131, v86
	v_mov_b32_e32 v86, v87
	;; [unrolled: 1-line block ×50, first 2 shown]
	ds_write2_b64 v228, v[8:9], v[10:11] offset1:34
	ds_write_b64 v228, v[4:5] offset:544
	s_and_saveexec_b64 s[10:11], s[0:1]
	s_cbranch_execz .LBB0_21
; %bb.20:
	v_pk_mul_f32 v[4:5], v[0:1], v[118:119] op_sel:[0,1]
	v_mov_b32_e32 v6, v79
	v_pk_mul_f32 v[6:7], v[2:3], v[6:7] op_sel_hi:[1,0]
	v_pk_fma_f32 v[8:9], v[0:1], v[118:119], v[4:5] op_sel:[0,0,1] op_sel_hi:[1,1,0]
	v_pk_fma_f32 v[0:1], v[0:1], v[118:119], v[4:5] op_sel:[0,0,1] op_sel_hi:[1,0,0] neg_lo:[1,0,0] neg_hi:[1,0,0]
	s_nop 0
	v_mov_b32_e32 v9, v1
	v_pk_fma_f32 v[0:1], v[2:3], v[78:79], v[6:7] op_sel:[0,0,1] op_sel_hi:[1,1,0]
	v_pk_fma_f32 v[2:3], v[2:3], v[78:79], v[6:7] op_sel:[0,0,1] op_sel_hi:[1,0,0] neg_lo:[1,0,0] neg_hi:[1,0,0]
	s_nop 0
	v_mov_b32_e32 v1, v3
	v_pk_add_f32 v[2:3], v[8:9], v[0:1]
	v_pk_add_f32 v[4:5], v[8:9], v[0:1] neg_lo:[0,1] neg_hi:[0,1]
	v_pk_fma_f32 v[2:3], -0.5, v[2:3], v[116:117] op_sel_hi:[0,1,1]
	v_pk_mul_f32 v[4:5], v[4:5], s[2:3] op_sel_hi:[1,0]
	s_nop 0
	v_pk_add_f32 v[6:7], v[2:3], v[4:5] op_sel:[0,1] op_sel_hi:[1,0]
	v_pk_add_f32 v[2:3], v[2:3], v[4:5] op_sel:[0,1] op_sel_hi:[1,0] neg_lo:[0,1] neg_hi:[0,1]
	v_pk_add_f32 v[4:5], v[116:117], v[8:9]
	s_nop 0
	v_pk_add_f32 v[0:1], v[4:5], v[0:1]
	v_mov_b32_e32 v4, v2
	v_mov_b32_e32 v5, v7
	v_add_u32_e32 v2, 0x1000, v226
	v_mov_b32_e32 v7, v3
	ds_write2_b64 v2, v[0:1], v[4:5] offset0:202 offset1:236
	ds_write_b64 v226, v[6:7] offset:6256
.LBB0_21:
	s_or_b64 exec, exec, s[10:11]
	v_add_u32_e32 v36, 0x800, v189
	s_waitcnt lgkmcnt(0)
	; wave barrier
	s_waitcnt lgkmcnt(0)
	ds_read2_b64 v[0:3], v36 offset0:152 offset1:203
	ds_read2_b64 v[4:7], v189 offset1:51
	v_add_u32_e32 v37, 0xc00, v189
	v_add_u32_e32 v38, 0x1000, v189
	s_movk_i32 s3, 0x1000
	s_waitcnt lgkmcnt(1)
	v_pk_mul_f32 v[8:9], v[80:81], v[0:1]
	s_nop 0
	v_pk_fma_f32 v[10:11], v[128:129], v[0:1], v[8:9] op_sel:[0,0,1] op_sel_hi:[1,1,0]
	v_pk_fma_f32 v[0:1], v[128:129], v[0:1], v[8:9] op_sel:[0,0,1] op_sel_hi:[1,1,0] neg_lo:[0,0,1] neg_hi:[0,0,1]
	s_nop 0
	v_mov_b32_e32 v11, v1
	s_waitcnt lgkmcnt(0)
	v_pk_add_f32 v[18:19], v[4:5], v[10:11] neg_lo:[0,1] neg_hi:[0,1]
	v_pk_mul_f32 v[0:1], v[86:87], v[2:3]
	v_pk_fma_f32 v[20:21], v[4:5], 2.0, v[18:19] op_sel_hi:[1,0,1] neg_lo:[0,0,1] neg_hi:[0,0,1]
	v_pk_fma_f32 v[4:5], v[130:131], v[2:3], v[0:1] op_sel:[0,0,1] op_sel_hi:[1,1,0]
	v_pk_fma_f32 v[8:9], v[130:131], v[2:3], v[0:1] op_sel:[0,0,1] op_sel_hi:[1,1,0] neg_lo:[0,0,1] neg_hi:[0,0,1]
	ds_read2_b64 v[0:3], v37 offset0:126 offset1:177
	v_mov_b32_e32 v5, v9
	v_pk_add_f32 v[22:23], v[6:7], v[4:5] neg_lo:[0,1] neg_hi:[0,1]
	s_waitcnt lgkmcnt(0)
	v_pk_mul_f32 v[8:9], v[86:87], v[2:3]
	v_pk_fma_f32 v[24:25], v[6:7], 2.0, v[22:23] op_sel_hi:[1,0,1] neg_lo:[0,0,1] neg_hi:[0,0,1]
	ds_read2_b64 v[4:7], v189 offset0:102 offset1:153
	v_pk_fma_f32 v[10:11], v[130:131], v[2:3], v[8:9] op_sel:[0,0,1] op_sel_hi:[1,1,0]
	v_pk_fma_f32 v[2:3], v[130:131], v[2:3], v[8:9] op_sel:[0,0,1] op_sel_hi:[1,1,0] neg_lo:[0,0,1] neg_hi:[0,0,1]
	s_nop 0
	v_mov_b32_e32 v11, v3
	s_waitcnt lgkmcnt(0)
	v_pk_add_f32 v[26:27], v[6:7], v[10:11] neg_lo:[0,1] neg_hi:[0,1]
	ds_read2_b64 v[8:11], v38 offset0:202 offset1:253
	v_pk_mul_f32 v[2:3], v[80:81], v[0:1]
	v_pk_fma_f32 v[6:7], v[6:7], 2.0, v[26:27] op_sel_hi:[1,0,1] neg_lo:[0,0,1] neg_hi:[0,0,1]
	v_pk_fma_f32 v[12:13], v[128:129], v[0:1], v[2:3] op_sel:[0,0,1] op_sel_hi:[1,1,0]
	v_pk_fma_f32 v[0:1], v[128:129], v[0:1], v[2:3] op_sel:[0,0,1] op_sel_hi:[1,1,0] neg_lo:[0,0,1] neg_hi:[0,0,1]
	s_nop 0
	v_mov_b32_e32 v13, v1
	ds_read2_b64 v[0:3], v36 offset0:50 offset1:101
	v_pk_add_f32 v[28:29], v[4:5], v[12:13] neg_lo:[0,1] neg_hi:[0,1]
	s_waitcnt lgkmcnt(1)
	v_pk_mul_f32 v[12:13], v[90:91], v[10:11]
	v_pk_fma_f32 v[4:5], v[4:5], 2.0, v[28:29] op_sel_hi:[1,0,1] neg_lo:[0,0,1] neg_hi:[0,0,1]
	v_pk_fma_f32 v[14:15], v[126:127], v[10:11], v[12:13] op_sel:[0,0,1] op_sel_hi:[1,1,0]
	v_pk_fma_f32 v[10:11], v[126:127], v[10:11], v[12:13] op_sel:[0,0,1] op_sel_hi:[1,1,0] neg_lo:[0,0,1] neg_hi:[0,0,1]
	s_nop 0
	v_mov_b32_e32 v15, v11
	s_waitcnt lgkmcnt(0)
	v_pk_add_f32 v[30:31], v[2:3], v[14:15] neg_lo:[0,1] neg_hi:[0,1]
	v_pk_mul_f32 v[14:15], v[88:89], v[8:9]
	ds_read2_b64 v[10:13], v38 offset0:100 offset1:151
	v_pk_fma_f32 v[16:17], v[124:125], v[8:9], v[14:15] op_sel:[0,0,1] op_sel_hi:[1,1,0]
	v_pk_fma_f32 v[8:9], v[124:125], v[8:9], v[14:15] op_sel:[0,0,1] op_sel_hi:[1,1,0] neg_lo:[0,0,1] neg_hi:[0,0,1]
	s_waitcnt lgkmcnt(0)
	v_pk_mul_f32 v[32:33], v[84:85], v[12:13]
	v_mov_b32_e32 v17, v9
	v_pk_add_f32 v[8:9], v[0:1], v[16:17] neg_lo:[0,1] neg_hi:[0,1]
	ds_read2_b64 v[14:17], v189 offset0:204 offset1:255
	v_pk_fma_f32 v[34:35], v[122:123], v[12:13], v[32:33] op_sel:[0,0,1] op_sel_hi:[1,1,0]
	v_pk_fma_f32 v[12:13], v[122:123], v[12:13], v[32:33] op_sel:[0,0,1] op_sel_hi:[1,1,0] neg_lo:[0,0,1] neg_hi:[0,0,1]
	v_pk_mul_f32 v[32:33], v[224:225], v[10:11]
	v_mov_b32_e32 v35, v13
	s_waitcnt lgkmcnt(0)
	v_pk_add_f32 v[12:13], v[16:17], v[34:35] neg_lo:[0,1] neg_hi:[0,1]
	v_pk_fma_f32 v[34:35], v[120:121], v[10:11], v[32:33] op_sel:[0,0,1] op_sel_hi:[1,1,0]
	v_pk_fma_f32 v[10:11], v[120:121], v[10:11], v[32:33] op_sel:[0,0,1] op_sel_hi:[1,1,0] neg_lo:[0,0,1] neg_hi:[0,0,1]
	s_nop 0
	v_mov_b32_e32 v35, v11
	v_pk_add_f32 v[10:11], v[14:15], v[34:35] neg_lo:[0,1] neg_hi:[0,1]
	; wave barrier
	s_nop 0
	v_pk_fma_f32 v[14:15], v[14:15], 2.0, v[10:11] op_sel_hi:[1,0,1] neg_lo:[0,0,1] neg_hi:[0,0,1]
	ds_write2_b64 v189, v[20:21], v[24:25] offset1:51
	ds_write2_b64 v189, v[18:19], v[22:23] offset0:102 offset1:153
	ds_write2_b64 v189, v[4:5], v[6:7] offset0:204 offset1:255
	;; [unrolled: 1-line block ×3, first 2 shown]
	v_add_u32_e32 v4, 0x800, v222
	ds_write2_b64 v4, v[14:15], v[10:11] offset0:152 offset1:254
	v_pk_fma_f32 v[4:5], v[16:17], 2.0, v[12:13] op_sel_hi:[1,0,1] neg_lo:[0,0,1] neg_hi:[0,0,1]
	v_add_u32_e32 v6, 0x800, v221
	ds_write2_b64 v6, v[4:5], v[12:13] offset0:152 offset1:254
	v_pk_fma_f32 v[0:1], v[0:1], 2.0, v[8:9] op_sel_hi:[1,0,1] neg_lo:[0,0,1] neg_hi:[0,0,1]
	;; [unrolled: 3-line block ×3, first 2 shown]
	v_add_u32_e32 v2, 0x1000, v82
	ds_write2_b64 v2, v[0:1], v[30:31] offset0:100 offset1:202
	s_waitcnt lgkmcnt(0)
	; wave barrier
	s_waitcnt lgkmcnt(0)
	ds_read2_b64 v[0:3], v37 offset0:126 offset1:177
	ds_read2_b64 v[4:7], v189 offset0:102 offset1:153
	s_waitcnt lgkmcnt(1)
	v_pk_mul_f32 v[8:9], v[98:99], v[2:3]
	s_nop 0
	v_pk_fma_f32 v[10:11], v[76:77], v[2:3], v[8:9] op_sel:[0,0,1] op_sel_hi:[1,1,0]
	v_pk_fma_f32 v[2:3], v[76:77], v[2:3], v[8:9] op_sel:[0,0,1] op_sel_hi:[1,1,0] neg_lo:[0,0,1] neg_hi:[0,0,1]
	s_nop 0
	v_mov_b32_e32 v11, v3
	s_waitcnt lgkmcnt(0)
	v_pk_add_f32 v[12:13], v[6:7], v[10:11] neg_lo:[0,1] neg_hi:[0,1]
	ds_read2_b64 v[8:11], v36 offset0:152 offset1:203
	v_pk_mul_f32 v[2:3], v[96:97], v[0:1]
	v_pk_fma_f32 v[26:27], v[6:7], 2.0, v[12:13] op_sel_hi:[1,0,1] neg_lo:[0,0,1] neg_hi:[0,0,1]
	v_pk_fma_f32 v[14:15], v[72:73], v[0:1], v[2:3] op_sel:[0,0,1] op_sel_hi:[1,1,0]
	v_pk_fma_f32 v[0:1], v[72:73], v[0:1], v[2:3] op_sel:[0,0,1] op_sel_hi:[1,1,0] neg_lo:[0,0,1] neg_hi:[0,0,1]
	s_waitcnt lgkmcnt(0)
	v_pk_mul_f32 v[16:17], v[92:93], v[8:9]
	v_mov_b32_e32 v15, v1
	ds_read2_b64 v[0:3], v189 offset1:51
	v_pk_fma_f32 v[18:19], v[70:71], v[8:9], v[16:17] op_sel:[0,0,1] op_sel_hi:[1,1,0]
	v_pk_fma_f32 v[8:9], v[70:71], v[8:9], v[16:17] op_sel:[0,0,1] op_sel_hi:[1,1,0] neg_lo:[0,0,1] neg_hi:[0,0,1]
	v_pk_add_f32 v[14:15], v[4:5], v[14:15] neg_lo:[0,1] neg_hi:[0,1]
	v_mov_b32_e32 v19, v9
	s_waitcnt lgkmcnt(0)
	v_pk_add_f32 v[16:17], v[0:1], v[18:19] neg_lo:[0,1] neg_hi:[0,1]
	v_pk_fma_f32 v[24:25], v[4:5], 2.0, v[14:15] op_sel_hi:[1,0,1] neg_lo:[0,0,1] neg_hi:[0,0,1]
	v_pk_fma_f32 v[18:19], v[0:1], 2.0, v[16:17] op_sel_hi:[1,0,1] neg_lo:[0,0,1] neg_hi:[0,0,1]
	v_pk_mul_f32 v[0:1], v[94:95], v[10:11]
	s_nop 0
	v_pk_fma_f32 v[8:9], v[74:75], v[10:11], v[0:1] op_sel:[0,0,1] op_sel_hi:[1,1,0]
	v_pk_fma_f32 v[0:1], v[74:75], v[10:11], v[0:1] op_sel:[0,0,1] op_sel_hi:[1,1,0] neg_lo:[0,0,1] neg_hi:[0,0,1]
	s_nop 0
	v_mov_b32_e32 v9, v1
	v_pk_add_f32 v[20:21], v[2:3], v[8:9] neg_lo:[0,1] neg_hi:[0,1]
	ds_read2_b64 v[8:11], v38 offset0:202 offset1:253
	v_pk_fma_f32 v[22:23], v[2:3], 2.0, v[20:21] op_sel_hi:[1,0,1] neg_lo:[0,0,1] neg_hi:[0,0,1]
	ds_read2_b64 v[0:3], v36 offset0:50 offset1:101
	s_waitcnt lgkmcnt(1)
	v_pk_mul_f32 v[4:5], v[98:99], v[10:11]
	s_nop 0
	v_pk_fma_f32 v[6:7], v[76:77], v[10:11], v[4:5] op_sel:[0,0,1] op_sel_hi:[1,1,0]
	v_pk_fma_f32 v[4:5], v[76:77], v[10:11], v[4:5] op_sel:[0,0,1] op_sel_hi:[1,1,0] neg_lo:[0,0,1] neg_hi:[0,0,1]
	v_pk_mul_f32 v[10:11], v[96:97], v[8:9]
	v_mov_b32_e32 v7, v5
	s_waitcnt lgkmcnt(0)
	v_pk_add_f32 v[28:29], v[2:3], v[6:7] neg_lo:[0,1] neg_hi:[0,1]
	ds_read2_b64 v[4:7], v38 offset0:100 offset1:151
	v_pk_fma_f32 v[30:31], v[72:73], v[8:9], v[10:11] op_sel:[0,0,1] op_sel_hi:[1,1,0]
	v_pk_fma_f32 v[8:9], v[72:73], v[8:9], v[10:11] op_sel:[0,0,1] op_sel_hi:[1,1,0] neg_lo:[0,0,1] neg_hi:[0,0,1]
	v_pk_fma_f32 v[2:3], v[2:3], 2.0, v[28:29] op_sel_hi:[1,0,1] neg_lo:[0,0,1] neg_hi:[0,0,1]
	v_mov_b32_e32 v31, v9
	ds_read2_b64 v[8:11], v189 offset0:204 offset1:255
	s_waitcnt lgkmcnt(1)
	v_pk_mul_f32 v[32:33], v[94:95], v[6:7]
	v_pk_add_f32 v[30:31], v[0:1], v[30:31] neg_lo:[0,1] neg_hi:[0,1]
	v_pk_fma_f32 v[34:35], v[74:75], v[6:7], v[32:33] op_sel:[0,0,1] op_sel_hi:[1,1,0]
	v_pk_fma_f32 v[6:7], v[74:75], v[6:7], v[32:33] op_sel:[0,0,1] op_sel_hi:[1,1,0] neg_lo:[0,0,1] neg_hi:[0,0,1]
	v_pk_mul_f32 v[32:33], v[92:93], v[4:5]
	v_mov_b32_e32 v35, v7
	s_waitcnt lgkmcnt(0)
	v_pk_add_f32 v[6:7], v[10:11], v[34:35] neg_lo:[0,1] neg_hi:[0,1]
	v_pk_fma_f32 v[34:35], v[70:71], v[4:5], v[32:33] op_sel:[0,0,1] op_sel_hi:[1,1,0]
	v_pk_fma_f32 v[4:5], v[70:71], v[4:5], v[32:33] op_sel:[0,0,1] op_sel_hi:[1,1,0] neg_lo:[0,0,1] neg_hi:[0,0,1]
	v_pk_fma_f32 v[10:11], v[10:11], 2.0, v[6:7] op_sel_hi:[1,0,1] neg_lo:[0,0,1] neg_hi:[0,0,1]
	v_mov_b32_e32 v35, v5
	v_pk_add_f32 v[4:5], v[8:9], v[34:35] neg_lo:[0,1] neg_hi:[0,1]
	v_pk_fma_f32 v[0:1], v[0:1], 2.0, v[30:31] op_sel_hi:[1,0,1] neg_lo:[0,0,1] neg_hi:[0,0,1]
	v_pk_fma_f32 v[8:9], v[8:9], 2.0, v[4:5] op_sel_hi:[1,0,1] neg_lo:[0,0,1] neg_hi:[0,0,1]
	s_waitcnt lgkmcnt(0)
	; wave barrier
	ds_write2_b64 v189, v[18:19], v[22:23] offset1:51
	ds_write2_b64 v189, v[16:17], v[20:21] offset0:204 offset1:255
	ds_write2_b64 v189, v[24:25], v[26:27] offset0:102 offset1:153
	;; [unrolled: 1-line block ×7, first 2 shown]
	s_waitcnt lgkmcnt(0)
	; wave barrier
	s_waitcnt lgkmcnt(0)
	ds_read2_b64 v[0:3], v36 offset0:152 offset1:203
	ds_read2_b64 v[4:7], v189 offset1:51
	s_waitcnt lgkmcnt(1)
	v_pk_mul_f32 v[8:9], v[112:113], v[0:1] op_sel:[1,0]
	s_nop 0
	v_pk_fma_f32 v[10:11], v[112:113], v[0:1], v[8:9] op_sel:[0,0,1] op_sel_hi:[1,1,0]
	v_pk_fma_f32 v[0:1], v[112:113], v[0:1], v[8:9] op_sel:[0,0,1] op_sel_hi:[0,1,0] neg_lo:[0,0,1] neg_hi:[0,0,1]
	v_mov_b32_e32 v11, v1
	s_waitcnt lgkmcnt(0)
	v_pk_add_f32 v[8:9], v[4:5], v[10:11] neg_lo:[0,1] neg_hi:[0,1]
	v_pk_mul_f32 v[0:1], v[114:115], v[2:3]
	v_pk_fma_f32 v[10:11], v[4:5], 2.0, v[8:9] op_sel_hi:[1,0,1] neg_lo:[0,0,1] neg_hi:[0,0,1]
	v_pk_fma_f32 v[4:5], v[68:69], v[2:3], v[0:1] op_sel:[0,0,1] op_sel_hi:[1,1,0]
	v_pk_fma_f32 v[12:13], v[68:69], v[2:3], v[0:1] op_sel:[0,0,1] op_sel_hi:[1,1,0] neg_lo:[0,0,1] neg_hi:[0,0,1]
	ds_read2_b64 v[0:3], v37 offset0:126 offset1:177
	v_mov_b32_e32 v5, v13
	v_pk_add_f32 v[12:13], v[6:7], v[4:5] neg_lo:[0,1] neg_hi:[0,1]
	s_waitcnt lgkmcnt(0)
	v_pk_mul_f32 v[16:17], v[110:111], v[0:1]
	v_pk_fma_f32 v[14:15], v[6:7], 2.0, v[12:13] op_sel_hi:[1,0,1] neg_lo:[0,0,1] neg_hi:[0,0,1]
	ds_read2_b64 v[4:7], v189 offset0:102 offset1:153
	v_pk_fma_f32 v[18:19], v[66:67], v[0:1], v[16:17] op_sel:[0,0,1] op_sel_hi:[1,1,0]
	v_pk_fma_f32 v[0:1], v[66:67], v[0:1], v[16:17] op_sel:[0,0,1] op_sel_hi:[1,1,0] neg_lo:[0,0,1] neg_hi:[0,0,1]
	s_nop 0
	v_mov_b32_e32 v19, v1
	s_waitcnt lgkmcnt(0)
	v_pk_add_f32 v[16:17], v[4:5], v[18:19] neg_lo:[0,1] neg_hi:[0,1]
	v_pk_mul_f32 v[0:1], v[108:109], v[2:3]
	v_pk_fma_f32 v[18:19], v[4:5], 2.0, v[16:17] op_sel_hi:[1,0,1] neg_lo:[0,0,1] neg_hi:[0,0,1]
	v_pk_fma_f32 v[4:5], v[64:65], v[2:3], v[0:1] op_sel:[0,0,1] op_sel_hi:[1,1,0]
	v_pk_fma_f32 v[20:21], v[64:65], v[2:3], v[0:1] op_sel:[0,0,1] op_sel_hi:[1,1,0] neg_lo:[0,0,1] neg_hi:[0,0,1]
	ds_read2_b64 v[0:3], v38 offset0:100 offset1:151
	v_mov_b32_e32 v5, v21
	v_pk_add_f32 v[20:21], v[6:7], v[4:5] neg_lo:[0,1] neg_hi:[0,1]
	s_waitcnt lgkmcnt(0)
	v_pk_mul_f32 v[24:25], v[104:105], v[0:1] op_sel:[1,0]
	v_pk_fma_f32 v[22:23], v[6:7], 2.0, v[20:21] op_sel_hi:[1,0,1] neg_lo:[0,0,1] neg_hi:[0,0,1]
	ds_read2_b64 v[4:7], v189 offset0:204 offset1:255
	v_pk_fma_f32 v[26:27], v[104:105], v[0:1], v[24:25] op_sel:[0,0,1] op_sel_hi:[1,1,0]
	v_pk_fma_f32 v[0:1], v[104:105], v[0:1], v[24:25] op_sel:[0,0,1] op_sel_hi:[0,1,0] neg_lo:[0,0,1] neg_hi:[0,0,1]
	v_mov_b32_e32 v27, v1
	v_pk_mul_f32 v[0:1], v[106:107], v[2:3]
	s_waitcnt lgkmcnt(0)
	v_pk_add_f32 v[24:25], v[4:5], v[26:27] neg_lo:[0,1] neg_hi:[0,1]
	s_nop 0
	v_pk_fma_f32 v[26:27], v[4:5], 2.0, v[24:25] op_sel_hi:[1,0,1] neg_lo:[0,0,1] neg_hi:[0,0,1]
	v_pk_fma_f32 v[4:5], v[62:63], v[2:3], v[0:1] op_sel:[0,0,1] op_sel_hi:[1,1,0]
	v_pk_fma_f32 v[0:1], v[62:63], v[2:3], v[0:1] op_sel:[0,0,1] op_sel_hi:[1,1,0] neg_lo:[0,0,1] neg_hi:[0,0,1]
	s_nop 0
	v_mov_b32_e32 v5, v1
	ds_read2_b64 v[0:3], v38 offset0:202 offset1:253
	v_pk_add_f32 v[28:29], v[6:7], v[4:5] neg_lo:[0,1] neg_hi:[0,1]
	ds_write2_b64 v189, v[10:11], v[14:15] offset1:51
	ds_write2_b64 v189, v[18:19], v[22:23] offset0:102 offset1:153
	v_pk_fma_f32 v[30:31], v[6:7], 2.0, v[28:29] op_sel_hi:[1,0,1] neg_lo:[0,0,1] neg_hi:[0,0,1]
	ds_read2_b64 v[4:7], v36 offset0:50 offset1:101
	s_waitcnt lgkmcnt(3)
	v_pk_mul_f32 v[10:11], v[102:103], v[0:1]
	s_nop 0
	v_pk_fma_f32 v[14:15], v[54:55], v[0:1], v[10:11] op_sel:[0,0,1] op_sel_hi:[1,1,0]
	v_pk_fma_f32 v[0:1], v[54:55], v[0:1], v[10:11] op_sel:[0,0,1] op_sel_hi:[1,1,0] neg_lo:[0,0,1] neg_hi:[0,0,1]
	v_pk_mul_f32 v[10:11], v[100:101], v[2:3]
	v_mov_b32_e32 v15, v1
	s_waitcnt lgkmcnt(0)
	v_pk_add_f32 v[0:1], v[4:5], v[14:15] neg_lo:[0,1] neg_hi:[0,1]
	v_pk_fma_f32 v[14:15], v[52:53], v[2:3], v[10:11] op_sel:[0,0,1] op_sel_hi:[1,1,0]
	v_pk_fma_f32 v[2:3], v[52:53], v[2:3], v[10:11] op_sel:[0,0,1] op_sel_hi:[1,1,0] neg_lo:[0,0,1] neg_hi:[0,0,1]
	v_pk_fma_f32 v[4:5], v[4:5], 2.0, v[0:1] op_sel_hi:[1,0,1] neg_lo:[0,0,1] neg_hi:[0,0,1]
	v_mov_b32_e32 v15, v3
	v_pk_add_f32 v[2:3], v[6:7], v[14:15] neg_lo:[0,1] neg_hi:[0,1]
	s_nop 0
	v_pk_fma_f32 v[6:7], v[6:7], 2.0, v[2:3] op_sel_hi:[1,0,1] neg_lo:[0,0,1] neg_hi:[0,0,1]
	ds_write2_b64 v36, v[8:9], v[12:13] offset0:152 offset1:203
	ds_write2_b64 v37, v[16:17], v[20:21] offset0:126 offset1:177
	;; [unrolled: 1-line block ×6, first 2 shown]
	s_waitcnt lgkmcnt(0)
	; wave barrier
	s_waitcnt lgkmcnt(0)
	s_and_b64 exec, exec, vcc
	s_cbranch_execz .LBB0_23
; %bb.22:
	global_load_dwordx2 v[2:3], v58, s[8:9]
	ds_read_b64 v[6:7], v189
	v_mad_u64_u32 v[4:5], s[0:1], s6, v188, 0
	v_mov_b32_e32 v10, v5
	v_mad_u64_u32 v[10:11], s[6:7], s7, v188, v[10:11]
	v_mov_b32_e32 v0, s12
	v_mov_b32_e32 v1, s13
	;; [unrolled: 1-line block ×3, first 2 shown]
	v_mad_u64_u32 v[8:9], s[10:11], s4, v242, 0
	v_lshl_add_u64 v[0:1], v[4:5], 3, v[0:1]
	s_mov_b32 s0, 0x14141414
	v_mov_b32_e32 v12, v9
	s_mov_b32 s1, 0x3f541414
	v_mad_u64_u32 v[12:13], s[6:7], s5, v242, v[12:13]
	v_mov_b32_e32 v9, v12
	v_lshl_add_u64 v[8:9], v[8:9], 3, v[0:1]
	v_mov_b32_e32 v14, 0x180
	s_mul_i32 s2, s5, 0x180
	v_or_b32_e32 v11, 0xc0, v242
	v_mov_b32_e32 v15, 0x300
	v_add_u32_e32 v12, 0x800, v58
	v_mov_b32_e32 v59, 0
	v_add_u32_e32 v16, 0x1000, v58
	v_or_b32_e32 v13, 0x240, v242
	s_waitcnt vmcnt(0) lgkmcnt(0)
	v_mul_f32_e32 v4, v7, v3
	v_mul_f32_e32 v3, v6, v3
	v_fmac_f32_e32 v4, v6, v2
	v_fma_f32 v5, v2, v7, -v3
	v_cvt_f64_f32_e32 v[2:3], v4
	v_cvt_f64_f32_e32 v[4:5], v5
	v_mul_f64 v[2:3], v[2:3], s[0:1]
	v_mul_f64 v[4:5], v[4:5], s[0:1]
	v_cvt_f32_f64_e32 v2, v[2:3]
	v_cvt_f32_f64_e32 v3, v[4:5]
	global_store_dwordx2 v[8:9], v[2:3], off
	global_load_dwordx2 v[6:7], v58, s[8:9] offset:384
	ds_read2_b64 v[2:5], v58 offset0:48 offset1:96
	v_mad_u64_u32 v[8:9], s[6:7], s4, v14, v[8:9]
	v_add_u32_e32 v9, s2, v9
	s_waitcnt vmcnt(0) lgkmcnt(0)
	v_mul_f32_e32 v10, v3, v7
	v_mul_f32_e32 v7, v2, v7
	v_fmac_f32_e32 v10, v2, v6
	v_fma_f32 v6, v6, v3, -v7
	v_cvt_f64_f32_e32 v[2:3], v10
	v_cvt_f64_f32_e32 v[6:7], v6
	v_mul_f64 v[2:3], v[2:3], s[0:1]
	v_mul_f64 v[6:7], v[6:7], s[0:1]
	v_cvt_f32_f64_e32 v2, v[2:3]
	v_cvt_f32_f64_e32 v3, v[6:7]
	global_store_dwordx2 v[8:9], v[2:3], off
	global_load_dwordx2 v[2:3], v58, s[8:9] offset:768
	v_mad_u64_u32 v[6:7], s[6:7], s4, v14, v[8:9]
	v_add_u32_e32 v7, s2, v7
	s_waitcnt vmcnt(0)
	v_mul_f32_e32 v8, v5, v3
	v_mul_f32_e32 v3, v4, v3
	v_fmac_f32_e32 v8, v4, v2
	v_fma_f32 v4, v2, v5, -v3
	v_cvt_f64_f32_e32 v[2:3], v8
	v_cvt_f64_f32_e32 v[4:5], v4
	v_mul_f64 v[2:3], v[2:3], s[0:1]
	v_mul_f64 v[4:5], v[4:5], s[0:1]
	v_cvt_f32_f64_e32 v2, v[2:3]
	v_cvt_f32_f64_e32 v3, v[4:5]
	global_store_dwordx2 v[6:7], v[2:3], off
	global_load_dwordx2 v[8:9], v58, s[8:9] offset:1152
	ds_read2_b64 v[2:5], v58 offset0:144 offset1:192
	v_mad_u64_u32 v[6:7], s[6:7], s4, v14, v[6:7]
	v_add_u32_e32 v7, s2, v7
	s_waitcnt vmcnt(0) lgkmcnt(0)
	v_mul_f32_e32 v10, v3, v9
	v_mul_f32_e32 v9, v2, v9
	v_fmac_f32_e32 v10, v2, v8
	v_fma_f32 v8, v8, v3, -v9
	v_cvt_f64_f32_e32 v[2:3], v10
	v_cvt_f64_f32_e32 v[8:9], v8
	v_mul_f64 v[2:3], v[2:3], s[0:1]
	v_mul_f64 v[8:9], v[8:9], s[0:1]
	v_cvt_f32_f64_e32 v2, v[2:3]
	v_cvt_f32_f64_e32 v3, v[8:9]
	global_store_dwordx2 v[6:7], v[2:3], off
	global_load_dwordx2 v[2:3], v58, s[8:9] offset:1536
	v_mad_u64_u32 v[8:9], s[6:7], s4, v11, 0
	v_mov_b32_e32 v10, v9
	v_mad_u64_u32 v[10:11], s[6:7], s5, v11, v[10:11]
	v_mov_b32_e32 v9, v10
	v_lshl_add_u64 v[8:9], v[8:9], 3, v[0:1]
	s_mul_i32 s6, s5, 0x300
	v_mad_u64_u32 v[6:7], s[10:11], s4, v15, v[6:7]
	v_add_u32_e32 v7, s6, v7
	v_or_b32_e32 v11, 0x180, v242
	s_waitcnt vmcnt(0)
	v_mul_f32_e32 v10, v5, v3
	v_mul_f32_e32 v3, v4, v3
	v_fmac_f32_e32 v10, v4, v2
	v_fma_f32 v4, v2, v5, -v3
	v_cvt_f64_f32_e32 v[2:3], v10
	v_cvt_f64_f32_e32 v[4:5], v4
	v_mul_f64 v[2:3], v[2:3], s[0:1]
	v_mul_f64 v[4:5], v[4:5], s[0:1]
	v_cvt_f32_f64_e32 v2, v[2:3]
	v_cvt_f32_f64_e32 v3, v[4:5]
	global_store_dwordx2 v[8:9], v[2:3], off
	global_load_dwordx2 v[8:9], v58, s[8:9] offset:1920
	v_add_u32_e32 v2, 0x400, v58
	ds_read2_b64 v[2:5], v2 offset0:112 offset1:160
	s_waitcnt vmcnt(0) lgkmcnt(0)
	v_mul_f32_e32 v10, v3, v9
	v_mul_f32_e32 v9, v2, v9
	v_fmac_f32_e32 v10, v2, v8
	v_fma_f32 v8, v8, v3, -v9
	v_cvt_f64_f32_e32 v[2:3], v10
	v_cvt_f64_f32_e32 v[8:9], v8
	v_mul_f64 v[2:3], v[2:3], s[0:1]
	v_mul_f64 v[8:9], v[8:9], s[0:1]
	v_cvt_f32_f64_e32 v2, v[2:3]
	v_cvt_f32_f64_e32 v3, v[8:9]
	global_store_dwordx2 v[6:7], v[2:3], off
	global_load_dwordx2 v[2:3], v58, s[8:9] offset:2304
	v_mad_u64_u32 v[6:7], s[10:11], s4, v14, v[6:7]
	v_add_u32_e32 v7, s2, v7
	s_waitcnt vmcnt(0)
	v_mul_f32_e32 v8, v5, v3
	v_mul_f32_e32 v3, v4, v3
	v_fmac_f32_e32 v8, v4, v2
	v_fma_f32 v4, v2, v5, -v3
	v_cvt_f64_f32_e32 v[2:3], v8
	v_cvt_f64_f32_e32 v[4:5], v4
	v_mul_f64 v[2:3], v[2:3], s[0:1]
	v_mul_f64 v[4:5], v[4:5], s[0:1]
	v_cvt_f32_f64_e32 v2, v[2:3]
	v_cvt_f32_f64_e32 v3, v[4:5]
	global_store_dwordx2 v[6:7], v[2:3], off
	global_load_dwordx2 v[8:9], v58, s[8:9] offset:2688
	ds_read2_b64 v[2:5], v12 offset0:80 offset1:128
	v_mad_u64_u32 v[6:7], s[10:11], s4, v14, v[6:7]
	v_add_u32_e32 v7, s2, v7
	s_waitcnt vmcnt(0) lgkmcnt(0)
	v_mul_f32_e32 v10, v3, v9
	v_mul_f32_e32 v9, v2, v9
	v_fmac_f32_e32 v10, v2, v8
	v_fma_f32 v8, v8, v3, -v9
	v_cvt_f64_f32_e32 v[2:3], v10
	v_cvt_f64_f32_e32 v[8:9], v8
	v_mul_f64 v[2:3], v[2:3], s[0:1]
	v_mul_f64 v[8:9], v[8:9], s[0:1]
	v_cvt_f32_f64_e32 v2, v[2:3]
	v_cvt_f32_f64_e32 v3, v[8:9]
	global_store_dwordx2 v[6:7], v[2:3], off
	global_load_dwordx2 v[2:3], v58, s[8:9] offset:3072
	v_mad_u64_u32 v[8:9], s[10:11], s4, v11, 0
	v_mov_b32_e32 v10, v9
	v_mad_u64_u32 v[10:11], s[10:11], s5, v11, v[10:11]
	v_mov_b32_e32 v9, v10
	v_lshl_add_u64 v[8:9], v[8:9], 3, v[0:1]
	v_mad_u64_u32 v[6:7], s[10:11], s4, v15, v[6:7]
	v_add_u32_e32 v7, s6, v7
	s_waitcnt vmcnt(0)
	v_mul_f32_e32 v10, v5, v3
	v_mul_f32_e32 v3, v4, v3
	v_fmac_f32_e32 v10, v4, v2
	v_fma_f32 v4, v2, v5, -v3
	v_cvt_f64_f32_e32 v[2:3], v10
	v_cvt_f64_f32_e32 v[4:5], v4
	v_mul_f64 v[2:3], v[2:3], s[0:1]
	v_mul_f64 v[4:5], v[4:5], s[0:1]
	v_cvt_f32_f64_e32 v2, v[2:3]
	v_cvt_f32_f64_e32 v3, v[4:5]
	global_store_dwordx2 v[8:9], v[2:3], off
	global_load_dwordx2 v[8:9], v58, s[8:9] offset:3456
	ds_read2_b64 v[2:5], v12 offset0:176 offset1:224
	v_lshlrev_b32_e32 v12, 3, v13
	s_waitcnt vmcnt(0) lgkmcnt(0)
	v_mul_f32_e32 v10, v3, v9
	v_mul_f32_e32 v9, v2, v9
	v_fmac_f32_e32 v10, v2, v8
	v_fma_f32 v8, v8, v3, -v9
	v_cvt_f64_f32_e32 v[2:3], v10
	v_cvt_f64_f32_e32 v[8:9], v8
	v_mul_f64 v[2:3], v[2:3], s[0:1]
	v_mul_f64 v[8:9], v[8:9], s[0:1]
	v_cvt_f32_f64_e32 v2, v[2:3]
	v_cvt_f32_f64_e32 v3, v[8:9]
	global_store_dwordx2 v[6:7], v[2:3], off
	global_load_dwordx2 v[2:3], v58, s[8:9] offset:3840
	v_lshl_add_u64 v[8:9], s[8:9], 0, v[58:59]
	v_mad_u64_u32 v[6:7], s[10:11], s4, v14, v[6:7]
	v_add_co_u32_e32 v8, vcc, s3, v8
	v_add_u32_e32 v7, s2, v7
	s_nop 0
	v_addc_co_u32_e32 v9, vcc, 0, v9, vcc
	s_waitcnt vmcnt(0)
	v_mul_f32_e32 v10, v5, v3
	v_mul_f32_e32 v3, v4, v3
	v_fmac_f32_e32 v10, v4, v2
	v_fma_f32 v4, v2, v5, -v3
	v_cvt_f64_f32_e32 v[2:3], v10
	v_cvt_f64_f32_e32 v[4:5], v4
	v_mul_f64 v[2:3], v[2:3], s[0:1]
	v_mul_f64 v[4:5], v[4:5], s[0:1]
	v_cvt_f32_f64_e32 v2, v[2:3]
	v_cvt_f32_f64_e32 v3, v[4:5]
	global_store_dwordx2 v[6:7], v[2:3], off
	global_load_dwordx2 v[10:11], v[8:9], off offset:128
	ds_read2_b64 v[2:5], v16 offset0:16 offset1:64
	v_mad_u64_u32 v[6:7], s[10:11], s4, v14, v[6:7]
	v_add_u32_e32 v7, s2, v7
	s_waitcnt vmcnt(0) lgkmcnt(0)
	v_mul_f32_e32 v17, v3, v11
	v_mul_f32_e32 v11, v2, v11
	v_fmac_f32_e32 v17, v2, v10
	v_fma_f32 v10, v10, v3, -v11
	v_cvt_f64_f32_e32 v[2:3], v17
	v_cvt_f64_f32_e32 v[10:11], v10
	v_mul_f64 v[2:3], v[2:3], s[0:1]
	v_mul_f64 v[10:11], v[10:11], s[0:1]
	v_cvt_f32_f64_e32 v2, v[2:3]
	v_cvt_f32_f64_e32 v3, v[10:11]
	global_store_dwordx2 v[6:7], v[2:3], off
	global_load_dwordx2 v[2:3], v12, s[8:9]
	v_mad_u64_u32 v[10:11], s[10:11], s4, v13, 0
	v_mov_b32_e32 v12, v11
	v_mad_u64_u32 v[12:13], s[10:11], s5, v13, v[12:13]
	v_mov_b32_e32 v11, v12
	v_lshl_add_u64 v[10:11], v[10:11], 3, v[0:1]
	v_mad_u64_u32 v[6:7], s[10:11], s4, v15, v[6:7]
	v_add_u32_e32 v7, s6, v7
	s_waitcnt vmcnt(0)
	v_mul_f32_e32 v12, v5, v3
	v_mul_f32_e32 v3, v4, v3
	v_fmac_f32_e32 v12, v4, v2
	v_fma_f32 v4, v2, v5, -v3
	v_cvt_f64_f32_e32 v[2:3], v12
	v_cvt_f64_f32_e32 v[4:5], v4
	v_mul_f64 v[2:3], v[2:3], s[0:1]
	v_mul_f64 v[4:5], v[4:5], s[0:1]
	v_cvt_f32_f64_e32 v2, v[2:3]
	v_cvt_f32_f64_e32 v3, v[4:5]
	global_store_dwordx2 v[10:11], v[2:3], off
	global_load_dwordx2 v[10:11], v[8:9], off offset:896
	ds_read2_b64 v[2:5], v16 offset0:112 offset1:160
	s_waitcnt vmcnt(0) lgkmcnt(0)
	v_mul_f32_e32 v12, v3, v11
	v_mul_f32_e32 v11, v2, v11
	v_fmac_f32_e32 v12, v2, v10
	v_fma_f32 v10, v10, v3, -v11
	v_cvt_f64_f32_e32 v[2:3], v12
	v_cvt_f64_f32_e32 v[10:11], v10
	v_mul_f64 v[2:3], v[2:3], s[0:1]
	v_mul_f64 v[10:11], v[10:11], s[0:1]
	v_cvt_f32_f64_e32 v2, v[2:3]
	v_cvt_f32_f64_e32 v3, v[10:11]
	global_store_dwordx2 v[6:7], v[2:3], off
	global_load_dwordx2 v[2:3], v[8:9], off offset:1280
	v_mad_u64_u32 v[6:7], s[6:7], s4, v14, v[6:7]
	v_add_u32_e32 v7, s2, v7
	s_waitcnt vmcnt(0)
	v_mul_f32_e32 v10, v5, v3
	v_mul_f32_e32 v3, v4, v3
	v_fmac_f32_e32 v10, v4, v2
	v_fma_f32 v4, v2, v5, -v3
	v_cvt_f64_f32_e32 v[2:3], v10
	v_cvt_f64_f32_e32 v[4:5], v4
	v_mul_f64 v[2:3], v[2:3], s[0:1]
	v_mul_f64 v[4:5], v[4:5], s[0:1]
	v_cvt_f32_f64_e32 v2, v[2:3]
	v_cvt_f32_f64_e32 v3, v[4:5]
	global_store_dwordx2 v[6:7], v[2:3], off
	global_load_dwordx2 v[8:9], v[8:9], off offset:1664
	v_add_u32_e32 v2, 0x1400, v58
	ds_read2_b64 v[2:5], v2 offset0:80 offset1:128
	v_mad_u64_u32 v[6:7], s[6:7], s4, v14, v[6:7]
	v_or_b32_e32 v10, 0x300, v242
	v_add_u32_e32 v7, s2, v7
	v_lshlrev_b32_e32 v11, 3, v10
	s_waitcnt vmcnt(0) lgkmcnt(0)
	v_mul_f32_e32 v12, v3, v9
	v_mul_f32_e32 v9, v2, v9
	v_fmac_f32_e32 v12, v2, v8
	v_fma_f32 v8, v8, v3, -v9
	v_cvt_f64_f32_e32 v[2:3], v12
	v_cvt_f64_f32_e32 v[8:9], v8
	v_mul_f64 v[2:3], v[2:3], s[0:1]
	v_mul_f64 v[8:9], v[8:9], s[0:1]
	v_cvt_f32_f64_e32 v2, v[2:3]
	v_cvt_f32_f64_e32 v3, v[8:9]
	global_store_dwordx2 v[6:7], v[2:3], off
	global_load_dwordx2 v[2:3], v11, s[8:9]
	v_mad_u64_u32 v[6:7], s[2:3], s4, v10, 0
	v_mov_b32_e32 v8, v7
	v_mad_u64_u32 v[8:9], s[2:3], s5, v10, v[8:9]
	v_mov_b32_e32 v7, v8
	v_lshl_add_u64 v[0:1], v[6:7], 3, v[0:1]
	s_waitcnt vmcnt(0)
	v_mul_f32_e32 v8, v5, v3
	v_mul_f32_e32 v3, v4, v3
	v_fmac_f32_e32 v8, v4, v2
	v_fma_f32 v4, v2, v5, -v3
	v_cvt_f64_f32_e32 v[2:3], v8
	v_cvt_f64_f32_e32 v[4:5], v4
	v_mul_f64 v[2:3], v[2:3], s[0:1]
	v_mul_f64 v[4:5], v[4:5], s[0:1]
	v_cvt_f32_f64_e32 v2, v[2:3]
	v_cvt_f32_f64_e32 v3, v[4:5]
	global_store_dwordx2 v[0:1], v[2:3], off
.LBB0_23:
	s_endpgm
	.section	.rodata,"a",@progbits
	.p2align	6, 0x0
	.amdhsa_kernel bluestein_single_fwd_len816_dim1_sp_op_CI_CI
		.amdhsa_group_segment_fixed_size 6528
		.amdhsa_private_segment_fixed_size 0
		.amdhsa_kernarg_size 104
		.amdhsa_user_sgpr_count 2
		.amdhsa_user_sgpr_dispatch_ptr 0
		.amdhsa_user_sgpr_queue_ptr 0
		.amdhsa_user_sgpr_kernarg_segment_ptr 1
		.amdhsa_user_sgpr_dispatch_id 0
		.amdhsa_user_sgpr_kernarg_preload_length 0
		.amdhsa_user_sgpr_kernarg_preload_offset 0
		.amdhsa_user_sgpr_private_segment_size 0
		.amdhsa_uses_dynamic_stack 0
		.amdhsa_enable_private_segment 0
		.amdhsa_system_sgpr_workgroup_id_x 1
		.amdhsa_system_sgpr_workgroup_id_y 0
		.amdhsa_system_sgpr_workgroup_id_z 0
		.amdhsa_system_sgpr_workgroup_info 0
		.amdhsa_system_vgpr_workitem_id 0
		.amdhsa_next_free_vgpr 350
		.amdhsa_next_free_sgpr 74
		.amdhsa_accum_offset 256
		.amdhsa_reserve_vcc 1
		.amdhsa_float_round_mode_32 0
		.amdhsa_float_round_mode_16_64 0
		.amdhsa_float_denorm_mode_32 3
		.amdhsa_float_denorm_mode_16_64 3
		.amdhsa_dx10_clamp 1
		.amdhsa_ieee_mode 1
		.amdhsa_fp16_overflow 0
		.amdhsa_tg_split 0
		.amdhsa_exception_fp_ieee_invalid_op 0
		.amdhsa_exception_fp_denorm_src 0
		.amdhsa_exception_fp_ieee_div_zero 0
		.amdhsa_exception_fp_ieee_overflow 0
		.amdhsa_exception_fp_ieee_underflow 0
		.amdhsa_exception_fp_ieee_inexact 0
		.amdhsa_exception_int_div_zero 0
	.end_amdhsa_kernel
	.text
.Lfunc_end0:
	.size	bluestein_single_fwd_len816_dim1_sp_op_CI_CI, .Lfunc_end0-bluestein_single_fwd_len816_dim1_sp_op_CI_CI
                                        ; -- End function
	.section	.AMDGPU.csdata,"",@progbits
; Kernel info:
; codeLenInByte = 21832
; NumSgprs: 80
; NumVgprs: 256
; NumAgprs: 94
; TotalNumVgprs: 350
; ScratchSize: 0
; MemoryBound: 0
; FloatMode: 240
; IeeeMode: 1
; LDSByteSize: 6528 bytes/workgroup (compile time only)
; SGPRBlocks: 9
; VGPRBlocks: 43
; NumSGPRsForWavesPerEU: 80
; NumVGPRsForWavesPerEU: 350
; AccumOffset: 256
; Occupancy: 1
; WaveLimiterHint : 1
; COMPUTE_PGM_RSRC2:SCRATCH_EN: 0
; COMPUTE_PGM_RSRC2:USER_SGPR: 2
; COMPUTE_PGM_RSRC2:TRAP_HANDLER: 0
; COMPUTE_PGM_RSRC2:TGID_X_EN: 1
; COMPUTE_PGM_RSRC2:TGID_Y_EN: 0
; COMPUTE_PGM_RSRC2:TGID_Z_EN: 0
; COMPUTE_PGM_RSRC2:TIDIG_COMP_CNT: 0
; COMPUTE_PGM_RSRC3_GFX90A:ACCUM_OFFSET: 63
; COMPUTE_PGM_RSRC3_GFX90A:TG_SPLIT: 0
	.text
	.p2alignl 6, 3212836864
	.fill 256, 4, 3212836864
	.type	__hip_cuid_b2a7273416b30414,@object ; @__hip_cuid_b2a7273416b30414
	.section	.bss,"aw",@nobits
	.globl	__hip_cuid_b2a7273416b30414
__hip_cuid_b2a7273416b30414:
	.byte	0                               ; 0x0
	.size	__hip_cuid_b2a7273416b30414, 1

	.ident	"AMD clang version 19.0.0git (https://github.com/RadeonOpenCompute/llvm-project roc-6.4.0 25133 c7fe45cf4b819c5991fe208aaa96edf142730f1d)"
	.section	".note.GNU-stack","",@progbits
	.addrsig
	.addrsig_sym __hip_cuid_b2a7273416b30414
	.amdgpu_metadata
---
amdhsa.kernels:
  - .agpr_count:     94
    .args:
      - .actual_access:  read_only
        .address_space:  global
        .offset:         0
        .size:           8
        .value_kind:     global_buffer
      - .actual_access:  read_only
        .address_space:  global
        .offset:         8
        .size:           8
        .value_kind:     global_buffer
      - .actual_access:  read_only
        .address_space:  global
        .offset:         16
        .size:           8
        .value_kind:     global_buffer
      - .actual_access:  read_only
        .address_space:  global
        .offset:         24
        .size:           8
        .value_kind:     global_buffer
      - .actual_access:  read_only
        .address_space:  global
        .offset:         32
        .size:           8
        .value_kind:     global_buffer
      - .offset:         40
        .size:           8
        .value_kind:     by_value
      - .address_space:  global
        .offset:         48
        .size:           8
        .value_kind:     global_buffer
      - .address_space:  global
        .offset:         56
        .size:           8
        .value_kind:     global_buffer
      - .address_space:  global
        .offset:         64
        .size:           8
        .value_kind:     global_buffer
      - .address_space:  global
        .offset:         72
        .size:           8
        .value_kind:     global_buffer
      - .offset:         80
        .size:           4
        .value_kind:     by_value
      - .address_space:  global
        .offset:         88
        .size:           8
        .value_kind:     global_buffer
      - .address_space:  global
        .offset:         96
        .size:           8
        .value_kind:     global_buffer
    .group_segment_fixed_size: 6528
    .kernarg_segment_align: 8
    .kernarg_segment_size: 104
    .language:       OpenCL C
    .language_version:
      - 2
      - 0
    .max_flat_workgroup_size: 51
    .name:           bluestein_single_fwd_len816_dim1_sp_op_CI_CI
    .private_segment_fixed_size: 0
    .sgpr_count:     80
    .sgpr_spill_count: 0
    .symbol:         bluestein_single_fwd_len816_dim1_sp_op_CI_CI.kd
    .uniform_work_group_size: 1
    .uses_dynamic_stack: false
    .vgpr_count:     350
    .vgpr_spill_count: 0
    .wavefront_size: 64
amdhsa.target:   amdgcn-amd-amdhsa--gfx950
amdhsa.version:
  - 1
  - 2
...

	.end_amdgpu_metadata
